;; amdgpu-corpus repo=zjin-lcf/HeCBench kind=compiled arch=gfx1201 opt=O3
	.amdgcn_target "amdgcn-amd-amdhsa--gfx1201"
	.amdhsa_code_object_version 6
	.text
	.p2align	2                               ; -- Begin function _Z12cuda_rys_pbfPKdS0_S0_S0_
	.type	_Z12cuda_rys_pbfPKdS0_S0_S0_,@function
_Z12cuda_rys_pbfPKdS0_S0_S0_:           ; @_Z12cuda_rys_pbfPKdS0_S0_S0_
; %bb.0:
	s_wait_loadcnt_dscnt 0x0
	s_wait_expcnt 0x0
	s_wait_samplecnt 0x0
	s_wait_bvhcnt 0x0
	s_wait_kmcnt 0x0
	s_clause 0x2
	flat_load_b128 v[28:31], v[0:1] offset:16
	flat_load_b128 v[36:39], v[0:1] offset:32
	;; [unrolled: 1-line block ×6, first 2 shown]
	s_clause 0x1
	flat_load_b128 v[48:51], v[2:3]
	flat_load_b128 v[80:83], v[2:3] offset:16
	s_clause 0x1
	flat_load_b128 v[84:87], v[6:7]
	flat_load_b128 v[96:99], v[6:7] offset:16
	flat_load_b128 v[100:103], v[0:1]
	s_clause 0x1
	flat_load_b128 v[112:115], v[4:5]
	flat_load_b128 v[116:119], v[4:5] offset:16
	flat_load_b128 v[0:3], v[2:3] offset:32
	flat_load_b128 v[128:131], v[4:5] offset:32
	flat_load_b128 v[4:7], v[6:7] offset:32
	s_wait_loadcnt_dscnt 0xf0f
	v_cvt_i32_f64_e32 v35, v[30:31]
	s_wait_loadcnt_dscnt 0xe0e
	v_cvt_i32_f64_e32 v27, v[36:37]
	v_cvt_i32_f64_e32 v25, v[38:39]
	s_wait_loadcnt_dscnt 0xc0c
	v_cvt_f32_f64_e32 v66, v[12:13]
	v_cvt_f32_f64_e32 v65, v[8:9]
	s_wait_loadcnt_dscnt 0xb0b
	v_cvt_f32_f64_e32 v67, v[16:17]
	s_wait_loadcnt_dscnt 0x909
	v_cvt_f32_f64_e32 v55, v[48:49]
	v_cvt_f32_f64_e32 v68, v[20:21]
	s_wait_loadcnt_dscnt 0x808
	v_cvt_f32_f64_e32 v37, v[80:81]
	s_wait_loadcnt_dscnt 0x707
	v_cvt_f32_f64_e32 v64, v[84:85]
	v_cvt_f32_f64_e32 v48, v[86:87]
	v_cvt_i32_f64_e32 v8, v[82:83]
	s_wait_loadcnt_dscnt 0x505
	v_cvt_f32_f64_e32 v53, v[100:101]
	v_cvt_f32_f64_e32 v36, v[96:97]
	s_wait_loadcnt_dscnt 0x404
	v_cvt_f32_f64_e32 v33, v[114:115]
	s_wait_loadcnt_dscnt 0x202
	v_cvt_i32_f64_e32 v9, v[0:1]
	v_cvt_i32_f64_e32 v12, v[2:3]
	;; [unrolled: 1-line block ×3, first 2 shown]
	s_wait_loadcnt_dscnt 0x101
	v_cvt_i32_f64_e32 v31, v[128:129]
	v_cvt_f32_f64_e32 v39, v[50:51]
	v_cvt_i32_f64_e32 v26, v[130:131]
	v_cvt_i32_f64_e32 v13, v[98:99]
	v_cvt_f32_f64_e32 v34, v[102:103]
	v_cvt_f32_f64_e32 v29, v[28:29]
	;; [unrolled: 1-line block ×3, first 2 shown]
	s_wait_loadcnt_dscnt 0x0
	v_cvt_i32_f64_e32 v16, v[4:5]
	v_cvt_i32_f64_e32 v17, v[6:7]
	v_cvt_f32_f64_e32 v28, v[116:117]
	v_add_nc_u32_e32 v0, v27, v35
	v_add_f32_e32 v30, v65, v66
	v_mul_f32_e32 v1, v55, v66
	v_dual_mul_f32 v3, v37, v66 :: v_dual_mul_f32 v4, v64, v68
	v_add_f32_e32 v32, v67, v68
	v_mul_f32_e32 v5, v48, v68
	v_add3_u32 v0, v0, v25, v8
	v_dual_fmac_f32 v1, v53, v65 :: v_dual_mul_f32 v6, v36, v68
	s_delay_alu instid0(VALU_DEP_4) | instskip(NEXT) | instid1(VALU_DEP_4)
	v_mul_f32_e32 v69, v30, v32
	v_fmac_f32_e32 v5, v33, v67
	s_delay_alu instid0(VALU_DEP_4) | instskip(NEXT) | instid1(VALU_DEP_4)
	v_add3_u32 v0, v0, v9, v12
	v_div_scale_f32 v7, null, v30, v30, v1
	v_mul_f32_e32 v2, v39, v66
	s_delay_alu instid0(VALU_DEP_4) | instskip(NEXT) | instid1(VALU_DEP_4)
	v_div_scale_f32 v71, null, v32, v32, v5
	v_add3_u32 v0, v0, v38, v31
	s_delay_alu instid0(VALU_DEP_4) | instskip(SKIP_1) | instid1(VALU_DEP_3)
	v_rcp_f32_e32 v85, v7
	v_fmac_f32_e32 v3, v29, v65
	v_rcp_f32_e32 v97, v71
	v_fmac_f32_e32 v2, v34, v65
	v_add3_u32 v0, v0, v26, v13
	v_fmac_f32_e32 v6, v28, v67
	v_div_scale_f32 v50, null, v30, v30, v3
	s_delay_alu instid0(VALU_DEP_4) | instskip(NEXT) | instid1(VALU_DEP_4)
	v_div_scale_f32 v24, null, v30, v30, v2
	v_add3_u32 v80, v0, v16, v17
	s_delay_alu instid0(TRANS32_DEP_2) | instskip(SKIP_1) | instid1(TRANS32_DEP_1)
	v_fma_f32 v0, -v7, v85, 1.0
	v_fmac_f32_e32 v4, v54, v67
	v_fma_f32 v112, -v71, v97, 1.0
	v_add_f32_e32 v20, v30, v32
	v_rcp_f32_e32 v86, v24
	v_fmac_f32_e32 v85, v0, v85
	v_div_scale_f32 v52, null, v32, v32, v4
	v_div_scale_f32 v82, null, v32, v32, v6
	v_fmac_f32_e32 v97, v112, v97
	v_div_scale_f32 v84, null, v20, v20, v69
	s_delay_alu instid0(VALU_DEP_4) | instskip(SKIP_2) | instid1(VALU_DEP_1)
	v_rcp_f32_e32 v96, v52
	v_rcp_f32_e32 v87, v50
	;; [unrolled: 1-line block ×4, first 2 shown]
	v_fma_f32 v101, -v24, v86, 1.0
	v_div_scale_f32 v49, s0, v2, v30, v2
	v_div_scale_f32 v21, vcc_lo, v1, v30, v1
	v_div_scale_f32 v70, s2, v4, v32, v4
	v_fma_f32 v103, -v52, v96, 1.0
	s_delay_alu instid0(TRANS32_DEP_3) | instskip(SKIP_1) | instid1(TRANS32_DEP_2)
	v_fma_f32 v102, -v50, v87, 1.0
	v_fmac_f32_e32 v86, v101, v86
	v_fma_f32 v113, -v82, v98, 1.0
	s_delay_alu instid0(TRANS32_DEP_1)
	v_fma_f32 v114, -v84, v99, 1.0
	v_fmac_f32_e32 v96, v103, v96
	v_div_scale_f32 v51, s1, v3, v30, v3
	v_fmac_f32_e32 v87, v102, v87
	v_mul_f32_e32 v101, v49, v86
	v_div_scale_f32 v83, s4, v6, v32, v6
	v_dual_fmac_f32 v99, v114, v99 :: v_dual_fmac_f32 v98, v113, v98
	v_dual_mul_f32 v103, v70, v96 :: v_dual_mul_f32 v0, v21, v85
	v_div_scale_f32 v81, s3, v5, v32, v5
	v_fma_f32 v117, -v24, v101, v49
	v_mul_f32_e32 v102, v51, v87
	v_mul_f32_e32 v113, v83, v98
	v_fma_f32 v116, -v7, v0, v21
	v_fma_f32 v119, -v52, v103, v70
	v_mul_f32_e32 v112, v81, v97
	v_fmac_f32_e32 v101, v117, v86
	v_fma_f32 v118, -v50, v102, v51
	s_delay_alu instid0(VALU_DEP_4) | instskip(NEXT) | instid1(VALU_DEP_4)
	v_dual_fmac_f32 v0, v116, v85 :: v_dual_fmac_f32 v103, v119, v96
	v_fma_f32 v128, -v71, v112, v81
	v_div_scale_f32 v100, s5, v69, v20, v69
	s_delay_alu instid0(VALU_DEP_4) | instskip(NEXT) | instid1(VALU_DEP_4)
	v_fmac_f32_e32 v102, v118, v87
	v_fma_f32 v7, -v7, v0, v21
	v_fma_f32 v21, -v24, v101, v49
	v_fmac_f32_e32 v112, v128, v97
	v_fma_f32 v49, -v52, v103, v70
	v_fma_f32 v24, -v50, v102, v51
	s_wait_alu 0xfffd
	v_div_fmas_f32 v0, v7, v85, v0
	s_mov_b32 vcc_lo, s0
	v_fma_f32 v129, -v82, v113, v83
	s_wait_alu 0xfffe
	v_div_fmas_f32 v7, v21, v86, v101
	s_mov_b32 vcc_lo, s1
	;; [unrolled: 4-line block ×3, first 2 shown]
	v_dual_mul_f32 v114, v100, v99 :: v_dual_fmac_f32 v113, v129, v98
	s_wait_alu 0xfffe
	v_div_fmas_f32 v24, v49, v96, v103
	s_mov_b32 vcc_lo, s3
	v_div_fixup_f32 v51, v7, v30, v2
	s_wait_alu 0xfffe
	v_div_fmas_f32 v49, v50, v97, v112
	v_fma_f32 v50, -v82, v113, v83
	s_mov_b32 vcc_lo, s4
	v_fma_f32 v130, -v84, v114, v100
	v_div_fixup_f32 v70, v0, v30, v1
	v_div_fixup_f32 v52, v49, v32, v5
	s_wait_alu 0xfffe
	v_div_fmas_f32 v0, v50, v98, v113
	v_div_fixup_f32 v71, v24, v32, v4
	v_div_fixup_f32 v49, v21, v30, v3
	s_mov_b32 vcc_lo, s5
	v_sub_f32_e32 v1, v51, v52
	v_div_fixup_f32 v50, v0, v32, v6
	v_sub_f32_e32 v0, v70, v71
	v_lshrrev_b32_e32 v115, 31, v80
	s_mov_b32 s0, exec_lo
	v_dual_mul_f32 v1, v1, v1 :: v_dual_fmac_f32 v114, v130, v99
	v_sub_f32_e32 v3, v49, v50
	s_delay_alu instid0(VALU_DEP_2) | instskip(NEXT) | instid1(VALU_DEP_3)
	v_fmac_f32_e32 v1, v0, v0
	v_fma_f32 v2, -v84, v114, v100
	v_add_nc_u32_e32 v0, v80, v115
	s_delay_alu instid0(VALU_DEP_3) | instskip(SKIP_1) | instid1(VALU_DEP_3)
	v_fmac_f32_e32 v1, v3, v3
	s_wait_alu 0xfffe
	v_div_fmas_f32 v2, v2, v99, v114
	s_delay_alu instid0(VALU_DEP_3) | instskip(NEXT) | instid1(VALU_DEP_2)
	v_ashrrev_i32_e32 v24, 1, v0
	v_div_fixup_f32 v21, v2, v20, v69
	s_delay_alu instid0(VALU_DEP_1)
	v_mul_f32_e32 v81, v21, v1
	v_cmpx_lt_i32_e32 5, v80
	s_xor_b32 s5, exec_lo, s0
	s_cbranch_execz .LBB0_82
; %bb.1:
	s_mov_b32 s0, exec_lo
	v_cmpx_lt_i32_e32 3, v24
	s_wait_alu 0xfffe
	s_xor_b32 s6, exec_lo, s0
	s_cbranch_execz .LBB0_41
; %bb.2:
	s_mov_b32 s7, exec_lo
	v_cmpx_eq_u32_e32 4, v24
	s_cbranch_execz .LBB0_40
; %bb.3:
                                        ; implicit-def: $vgpr0
                                        ; implicit-def: $vgpr83
                                        ; implicit-def: $vgpr7
                                        ; implicit-def: $vgpr82
	s_mov_b32 s0, exec_lo
	v_cmpx_ngt_f32_e32 0x34a10fb0, v81
	s_wait_alu 0xfffe
	s_xor_b32 s8, exec_lo, s0
	s_cbranch_execz .LBB0_37
; %bb.4:
                                        ; implicit-def: $vgpr0
                                        ; implicit-def: $vgpr83
                                        ; implicit-def: $vgpr7
                                        ; implicit-def: $vgpr82
	s_mov_b32 s0, exec_lo
	v_cmpx_ngt_f32_e32 1.0, v81
	s_wait_alu 0xfffe
	s_xor_b32 s9, exec_lo, s0
	s_cbranch_execz .LBB0_34
; %bb.5:
                                        ; implicit-def: $vgpr0
                                        ; implicit-def: $vgpr83
                                        ; implicit-def: $vgpr7
                                        ; implicit-def: $vgpr82
	s_mov_b32 s0, exec_lo
	v_cmpx_ngt_f32_e32 0x40a00000, v81
	s_wait_alu 0xfffe
	s_xor_b32 s10, exec_lo, s0
	s_cbranch_execz .LBB0_31
; %bb.6:
                                        ; implicit-def: $vgpr0
                                        ; implicit-def: $vgpr83
                                        ; implicit-def: $vgpr7
                                        ; implicit-def: $vgpr82
	s_mov_b32 s0, exec_lo
	v_cmpx_ngt_f32_e32 0x41200000, v81
	;; [unrolled: 10-line block ×6, first 2 shown]
	s_wait_alu 0xfffe
	s_xor_b32 s15, exec_lo, s0
	s_cbranch_execz .LBB0_16
; %bb.11:
	v_div_scale_f32 v0, null, v81, v81, 0x3f490fdb
	v_div_scale_f32 v3, vcc_lo, 0x3f490fdb, v81, 0x3f490fdb
                                        ; implicit-def: $vgpr83
                                        ; implicit-def: $vgpr82
	s_delay_alu instid0(VALU_DEP_2) | instskip(NEXT) | instid1(TRANS32_DEP_1)
	v_rcp_f32_e32 v1, v0
	v_fma_f32 v2, -v0, v1, 1.0
	s_delay_alu instid0(VALU_DEP_1) | instskip(NEXT) | instid1(VALU_DEP_1)
	v_fmac_f32_e32 v1, v2, v1
	v_mul_f32_e32 v2, v3, v1
	s_delay_alu instid0(VALU_DEP_1) | instskip(NEXT) | instid1(VALU_DEP_1)
	v_fma_f32 v4, -v0, v2, v3
	v_fmac_f32_e32 v2, v4, v1
	s_delay_alu instid0(VALU_DEP_1) | instskip(SKIP_1) | instid1(VALU_DEP_1)
	v_fma_f32 v0, -v0, v2, v3
	s_wait_alu 0xfffd
	v_div_fmas_f32 v0, v0, v1, v2
	s_delay_alu instid0(VALU_DEP_1) | instskip(NEXT) | instid1(VALU_DEP_1)
	v_div_fixup_f32 v0, v0, v81, 0x3f490fdb
	v_mul_f32_e32 v1, 0x4f800000, v0
	v_cmp_gt_f32_e32 vcc_lo, 0xf800000, v0
	s_wait_alu 0xfffd
	s_delay_alu instid0(VALU_DEP_2) | instskip(NEXT) | instid1(VALU_DEP_1)
	v_cndmask_b32_e32 v0, v0, v1, vcc_lo
	v_sqrt_f32_e32 v1, v0
	s_delay_alu instid0(TRANS32_DEP_1) | instskip(SKIP_1) | instid1(VALU_DEP_2)
	v_add_nc_u32_e32 v2, -1, v1
	v_add_nc_u32_e32 v3, 1, v1
	v_fma_f32 v4, -v2, v1, v0
	s_delay_alu instid0(VALU_DEP_2) | instskip(NEXT) | instid1(VALU_DEP_2)
	v_fma_f32 v5, -v3, v1, v0
	v_cmp_ge_f32_e64 s0, 0, v4
	s_wait_alu 0xf1ff
	s_delay_alu instid0(VALU_DEP_1) | instskip(NEXT) | instid1(VALU_DEP_3)
	v_cndmask_b32_e64 v1, v1, v2, s0
	v_cmp_lt_f32_e64 s0, 0, v5
                                        ; implicit-def: $vgpr7
	s_wait_alu 0xf1ff
	s_delay_alu instid0(VALU_DEP_1) | instskip(NEXT) | instid1(VALU_DEP_1)
	v_cndmask_b32_e64 v1, v1, v3, s0
	v_mul_f32_e32 v2, 0x37800000, v1
	s_delay_alu instid0(VALU_DEP_1) | instskip(SKIP_2) | instid1(VALU_DEP_1)
	v_cndmask_b32_e32 v1, v1, v2, vcc_lo
	v_cmp_class_f32_e64 s0, v0, 0x260
	s_wait_alu 0xf1ff
	v_cndmask_b32_e64 v84, v1, v0, s0
                                        ; implicit-def: $vgpr0
	s_mov_b32 s0, exec_lo
	v_cmpx_ngt_f32_e32 0x426c0000, v81
	s_wait_alu 0xfffe
	s_xor_b32 s4, exec_lo, s0
	s_cbranch_execz .LBB0_13
; %bb.12:
	v_add_f32_e32 v1, 0xbf898b3f, v81
	s_delay_alu instid0(VALU_DEP_1) | instskip(NEXT) | instid1(VALU_DEP_1)
	v_div_scale_f32 v4, null, v1, v1, 0x3f898b3f
	v_rcp_f32_e32 v82, v4
	s_delay_alu instid0(TRANS32_DEP_1) | instskip(NEXT) | instid1(VALU_DEP_1)
	v_fma_f32 v97, -v4, v82, 1.0
	v_fmac_f32_e32 v82, v97, v82
	v_add_f32_e32 v6, 0xc0cd4577, v81
	v_div_scale_f32 v87, s0, 0x3f898b3f, v1, 0x3f898b3f
	v_add_f32_e32 v0, 0xbdf0ce7a, v81
	s_delay_alu instid0(VALU_DEP_3) | instskip(NEXT) | instid1(VALU_DEP_1)
	v_div_scale_f32 v96, null, v6, v6, 0x40cd4577
	v_rcp_f32_e32 v98, v96
	s_delay_alu instid0(TRANS32_DEP_1) | instskip(SKIP_1) | instid1(VALU_DEP_2)
	v_fma_f32 v112, -v96, v98, 1.0
	v_add_f32_e32 v3, 0xc0458000, v81
	v_dual_add_f32 v81, 0xc13cea40, v81 :: v_dual_fmac_f32 v98, v112, v98
	s_delay_alu instid0(VALU_DEP_2) | instskip(SKIP_1) | instid1(VALU_DEP_2)
	v_div_scale_f32 v7, null, v3, v3, 0x40458000
	v_div_scale_f32 v100, s1, 0x40458000, v3, 0x40458000
	v_rcp_f32_e32 v85, v7
	s_delay_alu instid0(TRANS32_DEP_1) | instskip(NEXT) | instid1(VALU_DEP_1)
	v_fma_f32 v99, -v7, v85, 1.0
	v_fmac_f32_e32 v85, v99, v85
	v_mul_f32_e32 v99, v87, v82
	v_div_scale_f32 v2, null, v0, v0, 0x3df0ce7a
	v_div_scale_f32 v83, vcc_lo, 0x3df0ce7a, v0, 0x3df0ce7a
	s_delay_alu instid0(VALU_DEP_3) | instskip(NEXT) | instid1(VALU_DEP_3)
	v_fma_f32 v114, -v4, v99, v87
	v_rcp_f32_e32 v5, v2
	s_delay_alu instid0(VALU_DEP_1) | instskip(SKIP_1) | instid1(VALU_DEP_2)
	v_fmac_f32_e32 v99, v114, v82
	v_div_scale_f32 v103, s2, 0x40cd4577, v6, 0x40cd4577
	v_fma_f32 v4, -v4, v99, v87
	s_delay_alu instid0(TRANS32_DEP_1) | instskip(NEXT) | instid1(VALU_DEP_1)
	v_fma_f32 v86, -v2, v5, 1.0
	v_fmac_f32_e32 v5, v86, v5
	v_div_scale_f32 v86, null, v81, v81, 0x413cea40
	s_delay_alu instid0(VALU_DEP_2) | instskip(NEXT) | instid1(VALU_DEP_2)
	v_mul_f32_e32 v97, v83, v5
	v_rcp_f32_e32 v101, v86
	s_delay_alu instid0(VALU_DEP_1) | instskip(NEXT) | instid1(VALU_DEP_1)
	v_fma_f32 v102, -v2, v97, v83
	v_fmac_f32_e32 v97, v102, v5
	s_delay_alu instid0(TRANS32_DEP_1) | instskip(NEXT) | instid1(VALU_DEP_2)
	v_fma_f32 v102, -v86, v101, 1.0
	v_fma_f32 v2, -v2, v97, v83
	s_delay_alu instid0(VALU_DEP_2) | instskip(SKIP_2) | instid1(VALU_DEP_3)
	v_fmac_f32_e32 v101, v102, v101
	v_div_scale_f32 v83, s3, 0x413cea40, v81, 0x413cea40
	s_wait_alu 0xfffd
	v_div_fmas_f32 v2, v2, v5, v97
	s_mov_b32 vcc_lo, s0
	s_delay_alu instid0(VALU_DEP_2)
	v_mul_f32_e32 v97, v83, v101
	s_wait_alu 0xfffe
	v_div_fmas_f32 v4, v4, v82, v99
	v_mul_f32_e32 v5, v103, v98
	v_div_fixup_f32 v0, v2, v0, 0x3df0ce7a
	s_mov_b32 vcc_lo, s1
	v_fma_f32 v87, -v86, v97, v83
	v_div_fixup_f32 v1, v4, v1, 0x3f898b3f
	v_fma_f32 v2, -v96, v5, v103
	s_delay_alu instid0(VALU_DEP_3) | instskip(NEXT) | instid1(VALU_DEP_2)
	v_fmac_f32_e32 v97, v87, v101
	v_fmac_f32_e32 v5, v2, v98
	s_delay_alu instid0(VALU_DEP_2) | instskip(SKIP_1) | instid1(VALU_DEP_1)
	v_fma_f32 v82, -v86, v97, v83
	v_fmamk_f32 v83, v84, 0xbe8abc3d, v84
	v_fmamk_f32 v83, v84, 0xbd1c8fe4, v83
	s_delay_alu instid0(VALU_DEP_1) | instskip(SKIP_1) | instid1(VALU_DEP_2)
	v_fmamk_f32 v4, v84, 0xbac6b947, v83
	v_mul_f32_e32 v83, 0x3710a439, v84
	v_fmamk_f32 v4, v84, 0xb710a439, v4
	v_mul_f32_e32 v113, v100, v85
	s_delay_alu instid0(VALU_DEP_1) | instskip(NEXT) | instid1(VALU_DEP_1)
	v_fma_f32 v112, -v7, v113, v100
	v_fmac_f32_e32 v113, v112, v85
	s_delay_alu instid0(VALU_DEP_1) | instskip(SKIP_1) | instid1(VALU_DEP_1)
	v_fma_f32 v7, -v7, v113, v100
	s_wait_alu 0xfffe
	v_div_fmas_f32 v2, v7, v85, v113
	v_fma_f32 v7, -v96, v5, v103
	s_mov_b32 vcc_lo, s2
	s_delay_alu instid0(VALU_DEP_2) | instskip(SKIP_1) | instid1(VALU_DEP_2)
	v_div_fixup_f32 v2, v2, v3, 0x40458000
	s_wait_alu 0xfffe
	v_div_fmas_f32 v5, v7, v98, v5
	s_mov_b32 vcc_lo, s3
	s_wait_alu 0xfffe
	v_div_fmas_f32 v7, v82, v101, v97
	s_delay_alu instid0(VALU_DEP_2) | instskip(SKIP_2) | instid1(VALU_DEP_4)
	v_div_fixup_f32 v3, v5, v6, 0x40cd4577
	v_mul_f32_e32 v5, 0x3e8abc3d, v84
	v_mul_f32_e32 v6, 0x3d1c8fe4, v84
	v_div_fixup_f32 v82, v7, v81, 0x413cea40
	v_mul_f32_e32 v7, 0x3ac6b947, v84
                                        ; implicit-def: $vgpr81
                                        ; implicit-def: $vgpr84
.LBB0_13:
	s_wait_alu 0xfffe
	s_and_not1_saveexec_b32 s16, s4
	s_cbranch_execz .LBB0_15
; %bb.14:
	v_frexp_mant_f32_e32 v0, v81
	s_mov_b32 s0, 0x3e76c4e1
	s_mov_b32 s1, 0xbe6a5aca
	;; [unrolled: 1-line block ×4, first 2 shown]
	v_cmp_gt_f32_e32 vcc_lo, 0x3f2aaaab, v0
	s_mov_b32 s18, 0x35a5b5f0
	s_mov_b32 s4, 0xc055bca2
	;; [unrolled: 1-line block ×4, first 2 shown]
	s_wait_alu 0xfffd
	v_cndmask_b32_e64 v1, 1.0, 2.0, vcc_lo
	s_wait_alu 0xfffe
	v_fmaak_f32 v101, s17, v81, 0xb4aff1cc
	s_mov_b32 s20, 0x37afc644
	v_add_f32_e32 v96, 0xc13cea40, v81
	v_fmaak_f32 v102, s18, v81, 0xb814fdf2
	v_mul_f32_e32 v0, v0, v1
	s_delay_alu instid0(VALU_DEP_3) | instskip(NEXT) | instid1(VALU_DEP_2)
	v_div_scale_f32 v129, null, v96, v96, 0x413cea40
	v_add_f32_e32 v3, -1.0, v0
	v_add_f32_e32 v1, 1.0, v0
	s_delay_alu instid0(VALU_DEP_3) | instskip(NEXT) | instid1(VALU_DEP_1)
	v_rcp_f32_e32 v135, v129
	v_rcp_f32_e32 v2, v1
	s_delay_alu instid0(TRANS32_DEP_2) | instskip(NEXT) | instid1(TRANS32_DEP_1)
	v_fma_f32 v151, -v129, v135, 1.0
	v_dual_mul_f32 v4, v3, v2 :: v_dual_add_f32 v5, -1.0, v1
	s_delay_alu instid0(VALU_DEP_1) | instskip(NEXT) | instid1(VALU_DEP_2)
	v_dual_fmac_f32 v135, v151, v135 :: v_dual_mul_f32 v6, v1, v4
	v_sub_f32_e32 v0, v0, v5
	s_delay_alu instid0(VALU_DEP_2) | instskip(NEXT) | instid1(VALU_DEP_1)
	v_fma_f32 v1, v4, v1, -v6
	v_fmac_f32_e32 v1, v4, v0
	s_delay_alu instid0(VALU_DEP_1) | instskip(NEXT) | instid1(VALU_DEP_1)
	v_add_f32_e32 v0, v6, v1
	v_dual_sub_f32 v5, v3, v0 :: v_dual_sub_f32 v6, v0, v6
	s_delay_alu instid0(VALU_DEP_1) | instskip(NEXT) | instid1(VALU_DEP_2)
	v_sub_f32_e32 v1, v6, v1
	v_sub_f32_e32 v3, v3, v5
	s_delay_alu instid0(VALU_DEP_1) | instskip(NEXT) | instid1(VALU_DEP_1)
	v_sub_f32_e32 v0, v3, v0
	v_add_f32_e32 v0, v1, v0
	s_delay_alu instid0(VALU_DEP_1) | instskip(NEXT) | instid1(VALU_DEP_1)
	v_add_f32_e32 v0, v5, v0
	v_mul_f32_e32 v0, v2, v0
	s_delay_alu instid0(VALU_DEP_1) | instskip(NEXT) | instid1(VALU_DEP_1)
	v_add_f32_e32 v2, v4, v0
	v_sub_f32_e32 v1, v2, v4
	v_mul_f32_e32 v3, v2, v2
	s_delay_alu instid0(VALU_DEP_1) | instskip(NEXT) | instid1(VALU_DEP_3)
	v_fma_f32 v5, v2, v2, -v3
	v_sub_f32_e32 v4, v0, v1
	s_delay_alu instid0(VALU_DEP_1) | instskip(NEXT) | instid1(VALU_DEP_1)
	v_add_f32_e32 v0, v4, v4
	v_fmac_f32_e32 v5, v2, v0
	v_cvt_f64_f32_e32 v[0:1], v81
	s_delay_alu instid0(VALU_DEP_2) | instskip(NEXT) | instid1(VALU_DEP_1)
	v_add_f32_e32 v6, v3, v5
	v_fmaak_f32 v7, s0, v6, 0x3e91f4c4
	v_sub_f32_e32 v3, v6, v3
	s_mov_b32 s0, 0xbcc7afde
	s_delay_alu instid0(VALU_DEP_2) | instskip(NEXT) | instid1(VALU_DEP_2)
	v_fmaak_f32 v7, v6, v7, 0x3ecccdef
	v_sub_f32_e32 v3, v5, v3
	v_mul_f32_e32 v85, v2, v6
	s_delay_alu instid0(VALU_DEP_3) | instskip(NEXT) | instid1(VALU_DEP_1)
	v_mul_f32_e32 v82, v6, v7
	v_fma_f32 v5, v6, v7, -v82
	s_delay_alu instid0(VALU_DEP_1) | instskip(NEXT) | instid1(VALU_DEP_1)
	v_fmac_f32_e32 v5, v3, v7
	v_add_f32_e32 v7, v82, v5
	v_frexp_exp_i32_f64_e32 v0, v[0:1]
	s_delay_alu instid0(VALU_DEP_2) | instskip(NEXT) | instid1(VALU_DEP_1)
	v_sub_f32_e32 v82, v7, v82
	v_sub_f32_e32 v1, v5, v82
	v_fma_f32 v82, v6, v2, -v85
	s_delay_alu instid0(VALU_DEP_1) | instskip(SKIP_1) | instid1(VALU_DEP_2)
	v_dual_add_f32 v1, 0x31739010, v1 :: v_dual_fmac_f32 v82, v6, v4
	v_ldexp_f32 v4, v4, 1
	v_dual_fmac_f32 v82, v3, v2 :: v_dual_add_f32 v83, 0x3f2aaaaa, v7
	s_delay_alu instid0(VALU_DEP_1) | instskip(NEXT) | instid1(VALU_DEP_1)
	v_add_f32_e32 v5, 0xbf2aaaaa, v83
	v_sub_f32_e32 v5, v7, v5
	v_subrev_co_ci_u32_e64 v0, null, 0, v0, vcc_lo
	v_cmp_eq_f32_e32 vcc_lo, 1.0, v81
	s_delay_alu instid0(VALU_DEP_2) | instskip(NEXT) | instid1(VALU_DEP_4)
	v_cvt_f32_i32_e32 v0, v0
	v_add_f32_e32 v1, v1, v5
	s_delay_alu instid0(VALU_DEP_1) | instskip(NEXT) | instid1(VALU_DEP_1)
	v_add_f32_e32 v3, v83, v1
	v_dual_sub_f32 v6, v83, v3 :: v_dual_add_f32 v5, v85, v82
	s_delay_alu instid0(VALU_DEP_1) | instskip(NEXT) | instid1(VALU_DEP_2)
	v_add_f32_e32 v1, v1, v6
	v_mul_f32_e32 v7, v5, v3
	v_sub_f32_e32 v83, v5, v85
	s_delay_alu instid0(VALU_DEP_2) | instskip(NEXT) | instid1(VALU_DEP_2)
	v_fma_f32 v6, v5, v3, -v7
	v_sub_f32_e32 v82, v82, v83
	s_delay_alu instid0(VALU_DEP_2) | instskip(SKIP_1) | instid1(VALU_DEP_2)
	v_fmac_f32_e32 v6, v5, v1
	v_ldexp_f32 v1, v2, 1
	v_fmac_f32_e32 v6, v82, v3
	s_delay_alu instid0(VALU_DEP_1) | instskip(NEXT) | instid1(VALU_DEP_1)
	v_add_f32_e32 v2, v7, v6
	v_add_f32_e32 v3, v1, v2
	v_sub_f32_e32 v5, v2, v7
	s_delay_alu instid0(VALU_DEP_2) | instskip(NEXT) | instid1(VALU_DEP_2)
	v_sub_f32_e32 v1, v3, v1
	v_sub_f32_e32 v5, v6, v5
	s_delay_alu instid0(VALU_DEP_2) | instskip(NEXT) | instid1(VALU_DEP_2)
	v_sub_f32_e32 v1, v2, v1
	v_add_f32_e32 v2, v4, v5
	s_wait_alu 0xfffd
	v_cndmask_b32_e64 v4, 0x40400000, 1.0, vcc_lo
	s_delay_alu instid0(VALU_DEP_2) | instskip(SKIP_2) | instid1(VALU_DEP_3)
	v_add_f32_e32 v1, v2, v1
	v_mul_f32_e32 v7, 0x3f317218, v0
	v_mul_f32_e32 v2, 0xbfb8aa3b, v81
	v_add_f32_e32 v82, v3, v1
	s_delay_alu instid0(VALU_DEP_3) | instskip(NEXT) | instid1(VALU_DEP_3)
	v_fma_f32 v6, 0x3f317218, v0, -v7
	v_rndne_f32_e32 v114, v2
	v_fmaak_f32 v99, s4, v81, 0x437bd497
	s_delay_alu instid0(VALU_DEP_3) | instskip(NEXT) | instid1(VALU_DEP_1)
	v_fmamk_f32 v0, v0, 0xb102e308, v6
	v_add_f32_e32 v6, v7, v0
	s_delay_alu instid0(VALU_DEP_1) | instskip(SKIP_1) | instid1(VALU_DEP_2)
	v_add_f32_e32 v86, v6, v82
	v_sub_f32_e32 v7, v6, v7
	v_sub_f32_e32 v97, v86, v6
	s_delay_alu instid0(VALU_DEP_1) | instskip(SKIP_1) | instid1(VALU_DEP_2)
	v_sub_f32_e32 v98, v86, v97
	v_sub_f32_e32 v3, v82, v3
	v_dual_add_f32 v5, 0xbdf0ce7a, v81 :: v_dual_sub_f32 v6, v6, v98
	s_delay_alu instid0(VALU_DEP_2) | instskip(SKIP_1) | instid1(VALU_DEP_1)
	v_dual_fmaak_f32 v98, s3, v81, 0x42fe1a03 :: v_dual_sub_f32 v1, v1, v3
	v_sub_f32_e32 v3, v82, v97
	v_dual_fmaak_f32 v82, s1, v81, 0x419a8d79 :: v_dual_add_f32 v3, v3, v6
	v_fmaak_f32 v6, s2, v81, 0x4266bfe8
	v_sub_f32_e32 v0, v0, v7
	s_delay_alu instid0(VALU_DEP_3) | instskip(NEXT) | instid1(VALU_DEP_2)
	v_fmaak_f32 v82, v81, v82, 0xc415f195
	v_dual_fmaak_f32 v6, v81, v6, 0xc4de2153 :: v_dual_add_f32 v97, v0, v1
	s_delay_alu instid0(VALU_DEP_1) | instskip(NEXT) | instid1(VALU_DEP_2)
	v_fmaak_f32 v145, v81, v6, 0x4698a137
	v_sub_f32_e32 v100, v97, v0
	v_add_f32_e32 v3, v97, v3
	v_add_f32_e32 v83, 0xbf898b3f, v81
	s_delay_alu instid0(VALU_DEP_2) | instskip(NEXT) | instid1(VALU_DEP_1)
	v_dual_sub_f32 v97, v97, v100 :: v_dual_add_f32 v112, v86, v3
	v_sub_f32_e32 v0, v0, v97
	v_fma_f32 v97, 0xbfb8aa3b, v81, -v2
	s_delay_alu instid0(VALU_DEP_3) | instskip(SKIP_2) | instid1(VALU_DEP_4)
	v_sub_f32_e32 v86, v112, v86
	v_sub_f32_e32 v2, v2, v114
	v_cvt_i32_f32_e32 v114, v114
	v_fmamk_f32 v97, v81, 0xb2a5705f, v97
	v_sub_f32_e32 v1, v1, v100
	v_div_scale_f32 v100, null, v5, v5, 0x3df0ce7a
	s_delay_alu instid0(VALU_DEP_3) | instskip(NEXT) | instid1(VALU_DEP_3)
	v_add_f32_e32 v2, v2, v97
	v_dual_add_f32 v85, 0xc0458000, v81 :: v_dual_add_f32 v0, v1, v0
	v_sub_f32_e32 v1, v3, v86
	v_div_scale_f32 v86, null, v83, v83, 0x3f898b3f
	s_delay_alu instid0(VALU_DEP_3) | instskip(NEXT) | instid1(VALU_DEP_3)
	v_div_scale_f32 v115, null, v85, v85, 0x40458000
	v_add_f32_e32 v0, v0, v1
	v_rcp_f32_e32 v130, v100
	s_delay_alu instid0(VALU_DEP_3) | instskip(NEXT) | instid1(VALU_DEP_2)
	v_rcp_f32_e32 v131, v86
	v_rcp_f32_e32 v133, v115
	s_delay_alu instid0(VALU_DEP_1) | instskip(SKIP_3) | instid1(VALU_DEP_3)
	v_dual_fmaak_f32 v97, v81, v82, 0x45ced389 :: v_dual_add_f32 v116, v112, v0
	v_add_f32_e32 v87, 0xc0cd4577, v81
	v_exp_f32_e32 v2, v2
	v_div_scale_f32 v3, vcc_lo, 0x3df0ce7a, v5, 0x3df0ce7a
	v_sub_f32_e32 v112, v116, v112
	s_delay_alu instid0(VALU_DEP_3) | instskip(SKIP_2) | instid1(VALU_DEP_4)
	v_div_scale_f32 v118, null, v87, v87, 0x40cd4577
	v_mul_f32_e32 v119, v4, v116
	v_fma_f32 v6, -v100, v130, 1.0
	v_sub_f32_e32 v0, v0, v112
	s_delay_alu instid0(VALU_DEP_4)
	v_rcp_f32_e32 v134, v118
	v_fmaak_f32 v103, s19, v81, 0xb9dbe18f
	v_fma_f32 v112, v4, v116, -v119
	s_wait_alu 0xfffe
	v_fmaak_f32 v7, s0, v81, 0x4004ac4a
	v_cmp_class_f32_e64 s4, v119, 0x204
	v_fma_f32 v82, -v86, v131, 1.0
	v_div_scale_f32 v116, s3, 0x413cea40, v96, 0x413cea40
	v_fmac_f32_e32 v112, v4, v0
	v_fmaak_f32 v0, v81, v98, 0xc571adfa
	s_delay_alu instid0(VALU_DEP_4)
	v_dual_fmaak_f32 v98, v81, v101, 0x36221549 :: v_dual_fmac_f32 v131, v82, v131
	v_fma_f32 v150, -v118, v134, 1.0
	v_fmaak_f32 v113, s20, v81, 0xba34432f
	v_add_f32_e32 v101, v119, v112
	v_fmaak_f32 v146, v81, v0, 0x47253e7c
	v_fmaak_f32 v4, v81, v99, 0xc5ecca48
	;; [unrolled: 1-line block ×3, first 2 shown]
	v_fma_f32 v147, -v115, v133, 1.0
	v_fmac_f32_e32 v130, v6, v130
	v_fmaak_f32 v102, v81, v103, 0x3b7e1663
	v_dual_fmac_f32 v134, v150, v134 :: v_dual_fmaak_f32 v103, v81, v113, 0x3bdb224c
	s_wait_alu 0xf1ff
	v_cndmask_b32_e64 v113, v101, v119, s4
	v_div_scale_f32 v128, s2, 0x40cd4577, v87, 0x40cd4577
	v_fmac_f32_e32 v133, v147, v133
	v_div_scale_f32 v1, s0, 0x3f898b3f, v83, 0x3f898b3f
	s_delay_alu instid0(VALU_DEP_4) | instskip(NEXT) | instid1(VALU_DEP_4)
	v_cmp_eq_f32_e64 s4, 0x42b17218, v113
	v_mul_f32_e32 v147, v128, v134
	v_ldexp_f32 v2, v2, v114
	v_sub_f32_e32 v101, v101, v119
	v_mul_f32_e32 v82, v1, v131
	s_wait_alu 0xf1ff
	v_cndmask_b32_e64 v132, 0, 0x37000000, s4
	v_cmp_nlt_f32_e64 s4, 0x42ce8ed0, v81
	v_div_scale_f32 v117, s1, 0x40458000, v85, 0x40458000
	s_delay_alu instid0(VALU_DEP_3) | instskip(SKIP_1) | instid1(VALU_DEP_3)
	v_dual_sub_f32 v101, v112, v101 :: v_dual_sub_f32 v144, v113, v132
	s_wait_alu 0xf1ff
	v_cndmask_b32_e64 v2, 0, v2, s4
	v_cmp_neq_f32_e64 s4, 0x7f800000, |v113|
	v_fma_f32 v112, -v86, v82, v1
	v_fma_f32 v113, -v118, v147, v128
	v_mul_f32_e32 v0, 0x3fb8aa3b, v144
	v_fmaak_f32 v4, v81, v4, 0x47a08a57
	s_wait_alu 0xf1ff
	v_cndmask_b32_e64 v101, 0, v101, s4
	v_cmp_ngt_f32_e64 s4, 0xc2ce8ed0, v144
	v_fmac_f32_e32 v82, v112, v131
	v_fma_f32 v148, 0x3fb8aa3b, v144, -v0
	v_rndne_f32_e32 v149, v0
	v_fmaak_f32 v7, v81, v7, 0xc281315e
	s_delay_alu instid0(VALU_DEP_4) | instskip(NEXT) | instid1(VALU_DEP_4)
	v_fma_f32 v1, -v86, v82, v1
	v_fmamk_f32 v6, v144, 0x32a5705f, v148
	s_delay_alu instid0(VALU_DEP_4) | instskip(SKIP_2) | instid1(VALU_DEP_3)
	v_sub_f32_e32 v0, v0, v149
	v_cvt_i32_f32_e32 v119, v149
	v_mul_f32_e32 v148, v116, v135
	v_add_f32_e32 v0, v0, v6
	v_mul_f32_e32 v6, v3, v130
	s_delay_alu instid0(VALU_DEP_3) | instskip(NEXT) | instid1(VALU_DEP_3)
	v_fma_f32 v150, -v129, v148, v116
	v_exp_f32_e32 v0, v0
	s_delay_alu instid0(VALU_DEP_2) | instskip(NEXT) | instid1(VALU_DEP_2)
	v_fma_f32 v149, -v100, v6, v3
	v_dual_add_f32 v101, v132, v101 :: v_dual_fmac_f32 v148, v150, v135
	s_delay_alu instid0(VALU_DEP_2) | instskip(NEXT) | instid1(TRANS32_DEP_1)
	v_fmac_f32_e32 v6, v149, v130
	v_ldexp_f32 v0, v0, v119
	s_delay_alu instid0(VALU_DEP_2) | instskip(SKIP_1) | instid1(VALU_DEP_2)
	v_fma_f32 v3, -v100, v6, v3
	s_wait_alu 0xf1ff
	v_cndmask_b32_e64 v0, 0, v0, s4
	v_cmp_nlt_f32_e64 s4, 0x42b17218, v144
	s_wait_alu 0xf1ff
	s_delay_alu instid0(VALU_DEP_1) | instskip(SKIP_1) | instid1(VALU_DEP_2)
	v_cndmask_b32_e64 v0, 0x7f800000, v0, s4
	v_cmp_ngt_f32_e64 s4, 0xc2b17218, v81
	v_fma_f32 v101, v0, v101, v0
	s_wait_alu 0xf1ff
	s_delay_alu instid0(VALU_DEP_2) | instskip(SKIP_2) | instid1(VALU_DEP_1)
	v_cndmask_b32_e64 v2, 0x7f800000, v2, s4
	v_cmp_class_f32_e64 s4, v0, 0x204
	s_wait_alu 0xf1ff
	v_cndmask_b32_e64 v0, v101, v0, s4
	v_fma_f32 v101, -v129, v148, v116
	s_delay_alu instid0(VALU_DEP_2)
	v_mul_f32_e64 v112, v2, |v0|
	s_wait_alu 0xfffd
	v_div_fmas_f32 v2, v3, v130, v6
	s_mov_b32 vcc_lo, s0
	s_wait_alu 0xfffe
	v_div_fmas_f32 v1, v1, v131, v82
	v_mul_f32_e64 v3, |v0|, v112
	v_mul_f32_e32 v114, v117, v133
	v_fmac_f32_e32 v147, v113, v134
	v_div_fixup_f32 v0, v2, v5, 0x3df0ce7a
	v_div_fixup_f32 v1, v1, v83, 0x3f898b3f
	v_mul_f32_e32 v83, v102, v3
	v_fma_f32 v119, -v115, v114, v117
	v_fmaak_f32 v7, v81, v7, 0x44328a3f
	v_mul_f32_e32 v2, v103, v3
	s_mov_b32 vcc_lo, s1
	v_fma_f32 v100, -v118, v147, v128
	v_fmac_f32_e32 v114, v119, v133
	v_fmac_f32_e32 v0, v7, v112
	v_fmamk_f32 v5, v84, 0x3e8abc3d, v2
	v_mul_f32_e32 v7, v99, v3
	v_fmac_f32_e32 v1, v97, v112
	v_fma_f32 v86, -v115, v114, v117
	s_wait_alu 0xfffe
	s_delay_alu instid0(VALU_DEP_1)
	v_div_fmas_f32 v6, v86, v133, v114
	v_mul_f32_e32 v86, v98, v3
	s_mov_b32 vcc_lo, s2
	s_wait_alu 0xfffe
	v_div_fmas_f32 v82, v100, v134, v147
	v_div_fixup_f32 v2, v6, v85, 0x40458000
	v_fmamk_f32 v6, v84, 0x3d1c8fe4, v83
	v_sub_f32_e32 v83, v84, v5
	s_mov_b32 vcc_lo, s3
	v_fmamk_f32 v7, v84, 0x3ac6b947, v7
	s_wait_alu 0xfffe
	v_div_fmas_f32 v85, v101, v135, v148
	v_div_fixup_f32 v3, v82, v87, 0x40cd4577
	v_dual_sub_f32 v98, v83, v6 :: v_dual_fmamk_f32 v83, v84, 0x3710a439, v86
	v_fmac_f32_e32 v2, v145, v112
	s_delay_alu instid0(VALU_DEP_4) | instskip(NEXT) | instid1(VALU_DEP_3)
	v_div_fixup_f32 v82, v85, v96, 0x413cea40
	v_sub_f32_e32 v81, v98, v7
	v_fmac_f32_e32 v3, v146, v112
	s_delay_alu instid0(VALU_DEP_3) | instskip(NEXT) | instid1(VALU_DEP_3)
	v_fmac_f32_e32 v82, v4, v112
	v_sub_f32_e32 v4, v81, v83
.LBB0_15:
	s_wait_alu 0xfffe
	s_or_b32 exec_lo, exec_lo, s16
                                        ; implicit-def: $vgpr81
.LBB0_16:
	s_wait_alu 0xfffe
	s_and_not1_saveexec_b32 s3, s15
	s_cbranch_execz .LBB0_18
; %bb.17:
	v_div_scale_f32 v0, null, v81, v81, 0x3f490fdb
	s_mov_b32 s1, 0xb7864dc2
	v_div_scale_f32 v2, vcc_lo, 0x3f490fdb, v81, 0x3f490fdb
	v_rcp_f32_e32 v1, v0
	s_wait_alu 0xfffe
	v_fmaak_f32 v84, s1, v81, 0x3a909d07
	s_mov_b32 s2, 0xb83c4620
	v_mul_f32_e32 v3, 0xbfb8aa3b, v81
	s_mov_b32 s0, 0xb5e8af67
	s_mov_b32 s4, 0xb885e8a0
	s_delay_alu instid0(VALU_DEP_1) | instskip(SKIP_1) | instid1(TRANS32_DEP_1)
	v_rndne_f32_e32 v86, v3
	v_fma_f32 v87, 0xbfb8aa3b, v81, -v3
	v_fma_f32 v7, -v0, v1, 1.0
	v_add_f32_e32 v4, 0xbdf0ce7a, v81
	s_delay_alu instid0(VALU_DEP_2) | instskip(SKIP_2) | instid1(VALU_DEP_2)
	v_fmac_f32_e32 v1, v7, v1
	s_wait_alu 0xfffe
	v_fmaak_f32 v7, s2, v81, 0x3b304eed
	v_mul_f32_e32 v96, v2, v1
	s_delay_alu instid0(VALU_DEP_1) | instskip(NEXT) | instid1(VALU_DEP_1)
	v_fma_f32 v99, -v0, v96, v2
	v_fmac_f32_e32 v96, v99, v1
	s_delay_alu instid0(VALU_DEP_1) | instskip(SKIP_3) | instid1(VALU_DEP_3)
	v_fma_f32 v0, -v0, v96, v2
	v_fmaak_f32 v2, v81, v84, 0xbe19a50c
	v_cvt_i32_f32_e32 v84, v86
	s_wait_alu 0xfffd
	v_div_fmas_f32 v0, v0, v1, v96
	v_sub_f32_e32 v1, v3, v86
	v_fmamk_f32 v3, v81, 0xb2a5705f, v87
	v_add_f32_e32 v6, 0xc0458000, v81
	v_div_scale_f32 v97, null, v4, v4, 0x3df0ce7a
	v_div_fixup_f32 v0, v0, v81, 0x3f490fdb
	s_delay_alu instid0(VALU_DEP_4) | instskip(NEXT) | instid1(VALU_DEP_4)
	v_add_f32_e32 v1, v1, v3
	v_div_scale_f32 v99, null, v6, v6, 0x40458000
	s_delay_alu instid0(VALU_DEP_4) | instskip(NEXT) | instid1(VALU_DEP_3)
	v_rcp_f32_e32 v86, v97
	v_mul_f32_e32 v112, 0x4f800000, v0
	v_cmp_gt_f32_e64 s2, 0xf800000, v0
	v_exp_f32_e32 v1, v1
	v_rcp_f32_e32 v96, v99
	s_wait_alu 0xf1ff
	s_delay_alu instid0(VALU_DEP_1) | instskip(NEXT) | instid1(VALU_DEP_1)
	v_cndmask_b32_e64 v3, v0, v112, s2
	v_sqrt_f32_e32 v112, v3
	v_add_f32_e32 v5, 0xbf898b3f, v81
	s_delay_alu instid0(TRANS32_DEP_3) | instskip(NEXT) | instid1(TRANS32_DEP_1)
	v_ldexp_f32 v1, v1, v84
	v_add_nc_u32_e32 v114, -1, v112
	s_delay_alu instid0(VALU_DEP_3) | instskip(SKIP_2) | instid1(VALU_DEP_3)
	v_div_scale_f32 v100, null, v5, v5, 0x3f898b3f
	v_div_scale_f32 v101, s1, 0x3f898b3f, v5, 0x3f898b3f
	v_add_nc_u32_e32 v116, 1, v112
	v_rcp_f32_e32 v87, v100
	v_fma_f32 v117, -v114, v112, v3
	v_fmaak_f32 v7, v81, v7, 0xbecd562e
	s_delay_alu instid0(VALU_DEP_2) | instskip(NEXT) | instid1(TRANS32_DEP_1)
	v_cmp_ge_f32_e32 vcc_lo, 0, v117
	v_fma_f32 v113, -v100, v87, 1.0
	s_delay_alu instid0(VALU_DEP_1) | instskip(SKIP_2) | instid1(VALU_DEP_3)
	v_dual_add_f32 v82, 0xc0cd4577, v81 :: v_dual_fmac_f32 v87, v113, v87
	v_fmaak_f32 v83, s0, v81, 0x38fb7e46
	v_div_scale_f32 v98, s0, 0x3df0ce7a, v4, 0x3df0ce7a
	v_div_scale_f32 v102, null, v82, v82, 0x40cd4577
	s_delay_alu instid0(VALU_DEP_4) | instskip(NEXT) | instid1(VALU_DEP_4)
	v_mul_f32_e32 v84, v101, v87
	v_fmaak_f32 v83, v81, v83, 0xbc829c7e
	s_delay_alu instid0(VALU_DEP_3) | instskip(NEXT) | instid1(VALU_DEP_1)
	v_rcp_f32_e32 v103, v102
	v_fmaak_f32 v83, v81, v83, 0x3f913d29
	s_delay_alu instid0(VALU_DEP_1) | instskip(SKIP_1) | instid1(VALU_DEP_2)
	v_fmaak_f32 v0, v81, v83, 0xc232e2f7
	v_fma_f32 v83, -v97, v86, 1.0
	v_fmaak_f32 v0, v81, v0, 0x4484d064
	s_delay_alu instid0(VALU_DEP_2) | instskip(SKIP_2) | instid1(VALU_DEP_3)
	v_fmac_f32_e32 v86, v83, v86
	v_fma_f32 v83, -v99, v96, 1.0
	v_fmaak_f32 v7, v81, v7, 0x41deb022
	v_dual_fmaak_f32 v0, v81, v0, 0xc66d9d91 :: v_dual_mul_f32 v113, v98, v86
	s_delay_alu instid0(VALU_DEP_2) | instskip(NEXT) | instid1(VALU_DEP_2)
	v_dual_fmac_f32 v96, v83, v96 :: v_dual_fmaak_f32 v7, v81, v7, 0xc4831d5a
	v_fmaak_f32 v0, v81, v0, 0x47ebab72
	s_delay_alu instid0(VALU_DEP_3) | instskip(NEXT) | instid1(VALU_DEP_1)
	v_fma_f32 v115, -v97, v113, v98
	v_fmac_f32_e32 v113, v115, v86
	v_fma_f32 v115, -v116, v112, v3
	s_wait_alu 0xfffd
	v_cndmask_b32_e32 v112, v112, v114, vcc_lo
	v_cmp_nlt_f32_e32 vcc_lo, 0x42ce8ed0, v81
	v_fmaak_f32 v2, v81, v2, 0x4128e6de
	v_fma_f32 v97, -v97, v113, v98
	v_fma_f32 v114, -v100, v84, v101
	v_fmaak_f32 v85, s4, v81, 0xbb16400c
	s_wait_alu 0xfffd
	v_cndmask_b32_e32 v1, 0, v1, vcc_lo
	v_cmp_lt_f32_e32 vcc_lo, 0, v115
	v_fmac_f32_e32 v84, v114, v87
	s_wait_alu 0xfffd
	v_cndmask_b32_e32 v98, v112, v116, vcc_lo
	s_mov_b32 vcc_lo, s0
	v_fmaak_f32 v112, v81, v0, 0xc8c6d24c
	s_wait_alu 0xfffe
	v_div_fmas_f32 v0, v97, v86, v113
	v_cmp_ngt_f32_e32 vcc_lo, 0xc2b17218, v81
	s_delay_alu instid0(VALU_DEP_2) | instskip(SKIP_4) | instid1(VALU_DEP_1)
	v_div_fixup_f32 v0, v0, v4, 0x3df0ce7a
	s_wait_alu 0xfffd
	v_cndmask_b32_e32 v97, 0x7f800000, v1, vcc_lo
	v_cmp_class_f32_e64 vcc_lo, v3, 0x260
	v_mul_f32_e32 v86, 0x37800000, v98
	v_cndmask_b32_e64 v1, v98, v86, s2
	v_fma_f32 v86, -v102, v103, 1.0
	v_fmaak_f32 v2, v81, v2, 0xc3cd3c02
	s_mov_b32 s2, 0xb81698a2
	s_wait_alu 0xfffd
	v_cndmask_b32_e32 v83, v1, v3, vcc_lo
	s_delay_alu instid0(VALU_DEP_2) | instskip(SKIP_3) | instid1(VALU_DEP_3)
	v_dual_fmac_f32 v103, v86, v103 :: v_dual_fmaak_f32 v2, v81, v2, 0x4616682d
	v_div_scale_f32 v3, s0, 0x40458000, v6, 0x40458000
	v_fmaak_f32 v1, v81, v85, 0xbd9cd29e
	s_mov_b32 vcc_lo, s1
	v_fmaak_f32 v2, v81, v2, 0xc804b404
	s_delay_alu instid0(VALU_DEP_2) | instskip(NEXT) | instid1(VALU_DEP_2)
	v_fmaak_f32 v85, v81, v1, 0x411207e1
	v_fmaak_f32 v2, v81, v2, 0x4981869e
	s_delay_alu instid0(VALU_DEP_1) | instskip(SKIP_2) | instid1(VALU_DEP_1)
	v_fmaak_f32 v4, v81, v2, 0xca565990
	v_fma_f32 v2, -v100, v84, v101
	s_wait_alu 0xfffe
	v_div_fmas_f32 v2, v2, v87, v84
	v_mul_f32_e32 v84, v3, v96
	s_mov_b32 vcc_lo, s0
	s_mov_b32 s0, 0x37e90472
	v_fmac_f32_e32 v0, v97, v112
	v_div_fixup_f32 v1, v2, v5, 0x3f898b3f
	v_fmaak_f32 v2, v81, v7, 0x46b92530
	v_fma_f32 v5, -v99, v84, v3
	v_fmaak_f32 v7, v81, v85, 0xc36813b9
	v_div_scale_f32 v85, s1, 0x40cd4577, v82, 0x40cd4577
	v_fmaak_f32 v86, s2, v81, 0xbcb91c15
	s_delay_alu instid0(VALU_DEP_4) | instskip(NEXT) | instid1(VALU_DEP_4)
	v_fmac_f32_e32 v84, v5, v96
	v_fmaak_f32 v5, v81, v7, 0x438ceb77
	s_delay_alu instid0(VALU_DEP_4)
	v_mul_f32_e32 v7, v85, v103
	v_fmaak_f32 v2, v81, v2, 0xc89c0214
	v_fmaak_f32 v86, v81, v86, 0x3f901f16
	v_fma_f32 v3, -v99, v84, v3
	v_fmaak_f32 v5, v81, v5, 0x47bb687c
	v_fma_f32 v87, -v102, v7, v85
	v_fmaak_f32 v2, v81, v2, 0x4a0f5bf4
	v_fmaak_f32 v86, v81, v86, 0xc236b374
	s_wait_alu 0xfffe
	v_div_fmas_f32 v3, v3, v96, v84
	s_mov_b32 vcc_lo, s1
	v_fmac_f32_e32 v7, v87, v103
	v_fmaak_f32 v5, v81, v5, 0xc9d8d82d
	v_fmaak_f32 v84, v81, v86, 0x44844173
	;; [unrolled: 1-line block ×3, first 2 shown]
	v_div_fixup_f32 v2, v3, v6, 0x40458000
	v_fma_f32 v3, -v102, v7, v85
	v_fmaak_f32 v87, v81, v5, 0x4b1c6310
	v_fmaak_f32 v5, v81, v84, 0xc6354148
	s_mov_b32 s1, 0xaffd7e2f
	s_mov_b32 s2, 0x3799fe51
	s_wait_alu 0xfffe
	v_div_fmas_f32 v3, v3, v103, v7
	v_fmaak_f32 v7, s0, v81, 0xbb120983
	v_fmaak_f32 v5, v81, v5, 0xc71f19c3
	;; [unrolled: 1-line block ×3, first 2 shown]
	s_mov_b32 s0, 0xb2ced85b
	v_div_fixup_f32 v3, v3, v82, 0x40cd4577
	v_fmaak_f32 v7, v81, v7, 0x3e24f189
	v_fmaak_f32 v100, v81, v5, 0x4a07a12d
	;; [unrolled: 1-line block ×3, first 2 shown]
	s_wait_alu 0xfffe
	v_fmaak_f32 v85, s0, v81, 0x370855d6
	v_fmac_f32_e32 v1, v97, v4
	v_fmaak_f32 v7, v81, v7, 0xc10f7aa0
	v_fmac_f32_e32 v3, v97, v87
	v_fmaak_f32 v5, v81, v5, 0x3a97c510
	v_fmaak_f32 v85, v81, v85, 0xba6d1b64
	v_fmac_f32_e32 v2, v97, v86
	v_fmaak_f32 v7, v81, v7, 0x43a40806
	s_delay_alu instid0(VALU_DEP_4) | instskip(NEXT) | instid1(VALU_DEP_4)
	v_fmaak_f32 v5, v81, v5, 0xbd5952a9
	v_fmaak_f32 v85, v81, v85, 0x3d829922
	s_delay_alu instid0(VALU_DEP_3) | instskip(NEXT) | instid1(VALU_DEP_3)
	v_fmaak_f32 v7, v81, v7, 0xc5ef49d1
	v_fmaak_f32 v5, v81, v5, 0x3fce47c6
	s_delay_alu instid0(VALU_DEP_3) | instskip(NEXT) | instid1(VALU_DEP_3)
	;; [unrolled: 3-line block ×5, first 2 shown]
	v_fmaak_f32 v85, v81, v85, 0xc4e9b6ff
	v_fmaak_f32 v7, v81, v7, 0x4a3d9949
	v_add_f32_e32 v84, 0xc13cea40, v81
	s_delay_alu instid0(VALU_DEP_3) | instskip(NEXT) | instid1(VALU_DEP_3)
	v_fmaak_f32 v85, v81, v85, 0x46bdcd1b
	v_mul_f32_e32 v7, v97, v7
	s_delay_alu instid0(VALU_DEP_3) | instskip(NEXT) | instid1(VALU_DEP_3)
	v_div_scale_f32 v6, null, v84, v84, 0x413cea40
	v_fmaak_f32 v85, v81, v85, 0xc831971e
	s_delay_alu instid0(VALU_DEP_2) | instskip(NEXT) | instid1(VALU_DEP_1)
	v_rcp_f32_e32 v98, v6
	v_fmaak_f32 v85, v81, v85, 0x4911b76c
	s_delay_alu instid0(TRANS32_DEP_1) | instskip(NEXT) | instid1(VALU_DEP_1)
	v_fma_f32 v99, -v6, v98, 1.0
	v_fmac_f32_e32 v98, v99, v98
	v_div_scale_f32 v99, vcc_lo, 0x413cea40, v84, 0x413cea40
	s_delay_alu instid0(VALU_DEP_1) | instskip(NEXT) | instid1(VALU_DEP_1)
	v_mul_f32_e32 v101, v99, v98
	v_fma_f32 v102, -v6, v101, v99
	s_delay_alu instid0(VALU_DEP_1) | instskip(SKIP_2) | instid1(VALU_DEP_3)
	v_dual_fmac_f32 v101, v102, v98 :: v_dual_fmaak_f32 v102, v81, v5, 0xc53ce99c
	v_fmamk_f32 v5, v83, 0x3e8abc3d, v7
	v_fmamk_f32 v7, v97, 0xbca0ba1f, v83
	v_fma_f32 v99, -v6, v101, v99
	s_delay_alu instid0(VALU_DEP_4) | instskip(SKIP_2) | instid1(VALU_DEP_3)
	v_fmaak_f32 v102, v81, v102, 0x4617cf01
	v_fmaak_f32 v96, s2, v81, 0xbacaf300
	s_wait_alu 0xfffd
	v_div_fmas_f32 v98, v99, v98, v101
	s_delay_alu instid0(VALU_DEP_3) | instskip(NEXT) | instid1(VALU_DEP_3)
	v_mul_f32_e32 v99, v97, v102
	v_fmaak_f32 v96, v81, v96, 0x3df2bada
	s_delay_alu instid0(VALU_DEP_3) | instskip(NEXT) | instid1(VALU_DEP_2)
	v_div_fixup_f32 v82, v98, v84, 0x413cea40
	v_fmaak_f32 v96, v81, v96, 0xc0d649ba
	s_delay_alu instid0(VALU_DEP_1) | instskip(NEXT) | instid1(VALU_DEP_1)
	v_fmaak_f32 v96, v81, v96, 0x4374ca15
	v_fmaak_f32 v96, v81, v96, 0xc5b1c29d
	s_delay_alu instid0(VALU_DEP_1) | instskip(NEXT) | instid1(VALU_DEP_1)
	v_fmaak_f32 v96, v81, v96, 0x479f1561
	v_fmaak_f32 v96, v81, v96, 0xc91ff4d1
	s_delay_alu instid0(VALU_DEP_1) | instskip(SKIP_1) | instid1(VALU_DEP_2)
	v_fmaak_f32 v96, v81, v96, 0x4a0a30b4
	v_fmaak_f32 v81, v81, v100, 0xcb75f75e
	v_mul_f32_e32 v96, v97, v96
	v_mul_f32_e32 v85, v97, v85
	s_delay_alu instid0(VALU_DEP_3) | instskip(NEXT) | instid1(VALU_DEP_3)
	v_fmac_f32_e32 v82, v97, v81
	v_fmamk_f32 v6, v83, 0x3d1c8fe4, v96
	v_sub_f32_e32 v96, v7, v5
	s_delay_alu instid0(VALU_DEP_4) | instskip(SKIP_1) | instid1(VALU_DEP_3)
	v_fmamk_f32 v7, v83, 0x3ac6b947, v85
	v_fmamk_f32 v83, v83, 0x3710a439, v99
	v_sub_f32_e32 v85, v96, v6
	s_delay_alu instid0(VALU_DEP_1) | instskip(NEXT) | instid1(VALU_DEP_1)
	v_sub_f32_e32 v84, v85, v7
	v_sub_f32_e32 v4, v84, v83
.LBB0_18:
	s_wait_alu 0xfffe
	s_or_b32 exec_lo, exec_lo, s3
                                        ; implicit-def: $vgpr81
.LBB0_19:
	s_wait_alu 0xfffe
	s_and_not1_saveexec_b32 s0, s14
	s_cbranch_execz .LBB0_21
; %bb.20:
	v_add_f32_e32 v81, 0xc1b40000, v81
	s_mov_b32 s2, 0x25a7199c
	s_mov_b32 s3, 0x270e00c0
	;; [unrolled: 1-line block ×4, first 2 shown]
	s_wait_alu 0xfffe
	v_fmaak_f32 v0, s2, v81, 0xa85c4f36
	v_fmaak_f32 v1, s3, v81, 0xa95c6a33
	;; [unrolled: 1-line block ×3, first 2 shown]
	s_mov_b32 s2, 0xa988b248
	v_fmaak_f32 v3, s1, v81, 0x280532ff
	v_fmaak_f32 v0, v81, v0, 0x298b40b5
	;; [unrolled: 1-line block ×3, first 2 shown]
	s_wait_alu 0xfffe
	v_fmaak_f32 v4, s2, v81, 0x2b92ff2d
	v_fmaak_f32 v2, v81, v2, 0xab53bedb
	;; [unrolled: 1-line block ×27, first 2 shown]
	s_mov_b32 s1, 0x9dd50ccf
	v_fmaak_f32 v0, v81, v0, 0xb65f0e7f
	v_fmaak_f32 v1, v81, v1, 0xb76fe272
	;; [unrolled: 1-line block ×16, first 2 shown]
	s_wait_alu 0xfffe
	v_fmaak_f32 v5, s1, v81, 0x1fa36fde
	s_mov_b32 s1, 0xa21e6225
	v_fmaak_f32 v2, v81, v6, 0x3e227f7e
	s_wait_alu 0xfffe
	v_fmaak_f32 v6, s1, v81, 0xa2352a85
	v_fmaak_f32 v4, v81, v4, 0xbdcb6439
	v_fmaak_f32 v5, v81, v5, 0xa1ea30d0
	s_mov_b32 s2, 0xa823fdf6
	s_mov_b32 s1, 0x27c70426
	v_fmaak_f32 v6, v81, v6, 0x26309378
	v_fmaak_f32 v82, v81, v4, 0x3f8c9e35
	;; [unrolled: 1-line block ×3, first 2 shown]
	s_wait_alu 0xfffe
	v_fmaak_f32 v4, s2, v81, 0x29e22b1a
	s_mov_b32 s2, 0x278feb72
	v_fmaak_f32 v0, v81, v3, 0x3babec00
	v_fmaak_f32 v3, v81, v7, 0x3ecbb2a0
	;; [unrolled: 1-line block ×3, first 2 shown]
	s_wait_alu 0xfffe
	v_fmaak_f32 v83, s2, v81, 0xa966819a
	v_fmaak_f32 v6, v81, v6, 0xa8199a3d
	;; [unrolled: 1-line block ×48, first 2 shown]
.LBB0_21:
	s_wait_alu 0xfffe
	s_or_b32 exec_lo, exec_lo, s0
                                        ; implicit-def: $vgpr81
.LBB0_22:
	s_wait_alu 0xfffe
	s_and_not1_saveexec_b32 s0, s13
	s_cbranch_execz .LBB0_24
; %bb.23:
	v_add_f32_e32 v81, 0xc18c0000, v81
	s_mov_b32 s1, 0x255d37bb
	s_mov_b32 s4, 0xa752b1bb
	;; [unrolled: 1-line block ×4, first 2 shown]
	s_wait_alu 0xfffe
	v_fmaak_f32 v0, s1, v81, 0x2661d98f
	s_mov_b32 s1, 0x285486e3
	v_fmaak_f32 v1, s4, v81, 0x28aee06f
	s_wait_alu 0xfffe
	v_fmaak_f32 v2, s1, v81, 0x2a0bc999
	v_fmaak_f32 v4, s3, v81, 0x2987366b
	;; [unrolled: 1-line block ×3, first 2 shown]
	s_mov_b32 s1, 0x1efe73e4
	v_fmaak_f32 v1, v81, v1, 0x2b08c803
	v_fmaak_f32 v2, v81, v2, 0xac88f6b3
	;; [unrolled: 1-line block ×4, first 2 shown]
	s_wait_alu 0xfffe
	v_fmaak_f32 v7, s1, v81, 0xa0fac7b0
	v_fmaak_f32 v1, v81, v1, 0xac62646a
	;; [unrolled: 1-line block ×5, first 2 shown]
	s_mov_b32 s1, 0x26fbf950
	v_fmaak_f32 v1, v81, v1, 0xaea4961d
	v_fmaak_f32 v2, v81, v2, 0x308275ad
	;; [unrolled: 1-line block ×4, first 2 shown]
	s_mov_b32 s2, 0xa6a0414f
	v_fmaak_f32 v1, v81, v1, 0x3045aa45
	v_fmaak_f32 v2, v81, v2, 0xb1ab585e
	;; [unrolled: 1-line block ×36, first 2 shown]
	s_wait_alu 0xfffe
	v_fmaak_f32 v5, s1, v81, 0xa6488387
	s_mov_b32 s1, 0x2376df6b
	v_fmaak_f32 v82, v81, v6, 0x3ff33329
	s_wait_alu 0xfffe
	v_fmaak_f32 v6, s1, v81, 0xa5c6c9ae
	v_fmaak_f32 v4, v81, v4, 0xa4d12232
	s_mov_b32 s1, 0xa688e20b
	v_fmaak_f32 v7, s2, v81, 0x27054fe0
	s_wait_alu 0xfffe
	v_fmaak_f32 v83, s1, v81, 0x27f0a4f0
	v_fmaak_f32 v6, v81, v6, 0x27aaf4fd
	;; [unrolled: 1-line block ×57, first 2 shown]
.LBB0_24:
	s_wait_alu 0xfffe
	s_or_b32 exec_lo, exec_lo, s0
                                        ; implicit-def: $vgpr81
.LBB0_25:
	s_wait_alu 0xfffe
	s_and_not1_saveexec_b32 s0, s12
	s_cbranch_execz .LBB0_27
; %bb.26:
	v_add_f32_e32 v81, 0xc1480000, v81
	s_mov_b32 s1, 0xa440066a
	s_mov_b32 s2, 0xa6038377
	;; [unrolled: 1-line block ×3, first 2 shown]
	s_wait_alu 0xfffe
	v_fmaak_f32 v0, s1, v81, 0x264fc70a
	v_fmaak_f32 v1, s2, v81, 0x27e128b1
	s_mov_b32 s1, 0xa8ca1751
	s_mov_b32 s2, 0xa7e77227
	s_wait_alu 0xfffe
	v_fmaak_f32 v2, s1, v81, 0x295b6d37
	v_fmaak_f32 v3, s3, v81, 0x28c0afef
	;; [unrolled: 1-line block ×3, first 2 shown]
	s_mov_b32 s1, 0xa018590b
	s_mov_b32 s2, 0xa6980722
	v_fmaak_f32 v2, v81, v2, 0x2cc4968c
	v_fmaak_f32 v3, v81, v3, 0x2b5dec6d
	;; [unrolled: 1-line block ×3, first 2 shown]
	s_wait_alu 0xfffe
	v_fmaak_f32 v5, s1, v81, 0x221f8da1
	s_mov_b32 s1, 0x22395373
	v_fmaak_f32 v2, v81, v2, 0xac564a67
	v_fmaak_f32 v3, v81, v3, 0xab7dfc70
	;; [unrolled: 1-line block ×3, first 2 shown]
	s_wait_alu 0xfffe
	v_fmaak_f32 v7, s1, v81, 0xa44718f2
	v_fmaak_f32 v5, v81, v5, 0xa40f5070
	v_fmaak_f32 v2, v81, v2, 0xb0a8391b
	v_fmaak_f32 v3, v81, v3, 0xae7fb4f7
	v_fmaak_f32 v4, v81, v4, 0xaef35824
	s_mov_b32 s1, 0x25cf89a3
	v_fmaak_f32 v5, v81, v5, 0x2603be95
	v_fmaak_f32 v2, v81, v2, 0xb10d4a38
	;; [unrolled: 1-line block ×37, first 2 shown]
	s_wait_alu 0xfffe
	v_fmaak_f32 v6, s1, v81, 0xa7e0e884
	s_mov_b32 s1, 0x2821c54e
	v_fmaak_f32 v4, v81, v4, 0xa8371f1b
	s_wait_alu 0xfffe
	v_fmaak_f32 v83, s1, v81, 0x29a3683c
	v_fmaak_f32 v7, v81, v7, 0xab1ad20e
	;; [unrolled: 1-line block ×62, first 2 shown]
.LBB0_27:
	s_wait_alu 0xfffe
	s_or_b32 exec_lo, exec_lo, s0
                                        ; implicit-def: $vgpr81
.LBB0_28:
	s_wait_alu 0xfffe
	s_and_not1_saveexec_b32 s0, s11
	s_cbranch_execz .LBB0_30
; %bb.29:
	v_add_f32_e32 v81, 0xc0f00000, v81
	s_mov_b32 s1, 0xa84d0c9c
	s_mov_b32 s2, 0xa7844894
	s_mov_b32 s3, 0x287a6e72
	s_mov_b32 s4, 0xa8664056
	s_wait_alu 0xfffe
	v_fmaak_f32 v0, s2, v81, 0x28665c86
	v_fmaak_f32 v1, s4, v81, 0x28b41034
	;; [unrolled: 1-line block ×4, first 2 shown]
	s_mov_b32 s2, 0xaa067ae9
	v_fmaak_f32 v0, v81, v0, 0xabb6767e
	v_fmaak_f32 v1, v81, v1, 0x2c8410e9
	;; [unrolled: 1-line block ×4, first 2 shown]
	s_wait_alu 0xfffe
	v_fmaak_f32 v4, s2, v81, 0xac24b72c
	v_fmaak_f32 v0, v81, v0, 0x2d81ef09
	;; [unrolled: 1-line block ×30, first 2 shown]
	s_mov_b32 s11, 0x21572974
	v_fmaak_f32 v4, v81, v4, 0xb7c71841
	v_fmaak_f32 v5, v81, v0, 0xbc15cc46
	;; [unrolled: 1-line block ×5, first 2 shown]
	s_wait_alu 0xfffe
	v_fmaak_f32 v3, s11, v81, 0xa3696281
	s_mov_b32 s1, 0xa348a2a3
	v_fmaak_f32 v4, v81, v4, 0x3641c034
	v_fmaak_f32 v1, v81, v5, 0x3dfb10ad
	;; [unrolled: 1-line block ×3, first 2 shown]
	s_wait_alu 0xfffe
	v_fmaak_f32 v6, s1, v81, 0x2555a2e1
	v_fmaak_f32 v7, v81, v3, 0x25597533
	;; [unrolled: 1-line block ×3, first 2 shown]
	s_mov_b32 s1, 0xa66c9de8
	v_fmaak_f32 v3, v81, v5, 0x3fb32774
	v_fmaak_f32 v5, v81, v6, 0xa744bb38
	;; [unrolled: 1-line block ×4, first 2 shown]
	s_wait_alu 0xfffe
	v_fmaak_f32 v7, s1, v81, 0x2877704b
	s_mov_b32 s2, 0x26b51f40
	v_fmaak_f32 v5, v81, v5, 0x2939e153
	v_fmaak_f32 v6, v81, v6, 0x29394dfa
	;; [unrolled: 1-line block ×3, first 2 shown]
	s_wait_alu 0xfffe
	v_fmaak_f32 v4, s2, v81, 0xa8d3021f
	v_fmaak_f32 v7, v81, v7, 0xaa63c10f
	;; [unrolled: 1-line block ×4, first 2 shown]
	s_mov_b32 s1, 0x280f4f2a
	v_fmaak_f32 v4, v81, v4, 0x2adfac9a
	v_fmaak_f32 v7, v81, v7, 0x2c573107
	;; [unrolled: 1-line block ×4, first 2 shown]
	s_wait_alu 0xfffe
	v_fmaak_f32 v83, s1, v81, 0xaa8bf20a
	v_fmaak_f32 v4, v81, v4, 0xacf05408
	;; [unrolled: 1-line block ×51, first 2 shown]
.LBB0_30:
	s_wait_alu 0xfffe
	s_or_b32 exec_lo, exec_lo, s0
                                        ; implicit-def: $vgpr81
.LBB0_31:
	s_wait_alu 0xfffe
	s_and_not1_saveexec_b32 s0, s10
	s_cbranch_execz .LBB0_33
; %bb.32:
	v_add_f32_e32 v81, 0xc0400000, v81
	s_mov_b32 s2, 0x283c4bc8
	s_mov_b32 s3, 0xa99b4e1a
	;; [unrolled: 1-line block ×4, first 2 shown]
	s_wait_alu 0xfffe
	v_fmaak_f32 v0, s2, v81, 0x29754577
	v_fmaak_f32 v1, s3, v81, 0x2b26a6ba
	;; [unrolled: 1-line block ×3, first 2 shown]
	s_mov_b32 s2, 0x2b4880f0
	s_mov_b32 s3, 0xa66b6b05
	v_fmaak_f32 v0, v81, v0, 0xaca9fa51
	v_fmaak_f32 v1, v81, v1, 0x2da27a98
	s_wait_alu 0xfffe
	v_fmaak_f32 v4, s2, v81, 0x2c5ec5b6
	v_fmaak_f32 v2, v81, v2, 0xadb9f664
	s_mov_b32 s1, 0x283b7ae5
	v_fmaak_f32 v0, v81, v0, 0x2ef9f35d
	v_fmaak_f32 v1, v81, v1, 0xafba689a
	;; [unrolled: 1-line block ×4, first 2 shown]
	s_mov_b32 s2, 0x2911b091
	v_fmaak_f32 v0, v81, v0, 0xb097c8ac
	v_fmaak_f32 v1, v81, v1, 0xb14dd9f5
	;; [unrolled: 1-line block ×33, first 2 shown]
	s_wait_alu 0xfffe
	v_fmaak_f32 v6, s1, v81, 0xaa350dc3
	s_mov_b32 s1, 0xa91a6110
	v_fmaak_f32 v4, v81, v4, 0xbfbcc86b
	v_fmaak_f32 v5, v81, v5, 0xaa5112f7
	s_wait_alu 0xfffe
	v_fmaak_f32 v7, s1, v81, 0x2b143093
	v_fmaak_f32 v6, v81, v6, 0x2c19a711
	s_mov_b32 s1, 0x29eaf8e8
	v_fmaak_f32 v82, v81, v4, 0x415920af
	v_fmaak_f32 v5, v81, v5, 0x2c36bc73
	;; [unrolled: 1-line block ×5, first 2 shown]
	s_wait_alu 0xfffe
	v_fmaak_f32 v83, s1, v81, 0xac089e7f
	v_fmaak_f32 v5, v81, v5, 0xae14548c
	v_fmaak_f32 v4, v81, v4, 0x2d08385c
	v_fmaak_f32 v7, v81, v7, 0x2ed6b60e
	v_fmaak_f32 v6, v81, v6, 0x2fca44e6
	v_fmaak_f32 v83, v81, v83, 0x2e194b61
	v_fmaak_f32 v5, v81, v5, 0x2fdd4c13
	v_fmaak_f32 v4, v81, v4, 0xaefc0358
	v_fmaak_f32 v7, v81, v7, 0xb0aaf9df
	v_fmaak_f32 v6, v81, v6, 0xb1919bb4
	v_fmaak_f32 v83, v81, v83, 0xb02c8df6
	v_fmaak_f32 v5, v81, v5, 0xb196d20a
	v_fmaak_f32 v4, v81, v4, 0x30ddff27
	v_fmaak_f32 v7, v81, v7, 0x327d03f8
	v_fmaak_f32 v6, v81, v6, 0x333fcbb5
	v_fmaak_f32 v83, v81, v83, 0x323d1bdc
	v_fmaak_f32 v5, v81, v5, 0x333a1722
	v_fmaak_f32 v4, v81, v4, 0xb2b91856
	v_fmaak_f32 v7, v81, v7, 0xb42d0f72
	v_fmaak_f32 v6, v81, v6, 0xb4e4f82e
	v_fmaak_f32 v83, v81, v83, 0xb44a37b4
	v_fmaak_f32 v5, v81, v5, 0xb4cd7237
	v_fmaak_f32 v4, v81, v4, 0x349174d0
	v_fmaak_f32 v7, v81, v7, 0x35d8f61a
	v_fmaak_f32 v6, v81, v6, 0x3674c2a6
	v_fmaak_f32 v83, v81, v83, 0x36519b48
	v_fmaak_f32 v5, v81, v5, 0x3647fd32
	v_fmaak_f32 v4, v81, v4, 0xb655e8e2
	v_fmaak_f32 v7, v81, v7, 0xb776609c
	v_fmaak_f32 v6, v81, v6, 0xb7e69389
	v_fmaak_f32 v83, v81, v83, 0xb8538ffc
	v_fmaak_f32 v5, v81, v5, 0xb7a86013
	v_fmaak_f32 v4, v81, v4, 0x3811b880
	v_fmaak_f32 v7, v81, v7, 0x38f95a24
	v_fmaak_f32 v6, v81, v6, 0x393b42d9
	v_fmaak_f32 v3, v81, v3, 0x3c20cc45
	v_fmaak_f32 v5, v81, v5, 0x38eed0b6
	v_fmaak_f32 v4, v81, v4, 0xb9b52c0b
	v_fmaak_f32 v7, v81, v7, 0xba5b8fdc
	v_fmaak_f32 v6, v81, v6, 0xba7dde2b
	v_fmaak_f32 v83, v81, v83, 0x3a51cdc7
	v_fmaak_f32 v5, v81, v5, 0xba094414
	v_fmaak_f32 v4, v81, v4, 0x3b486555
	v_fmaak_f32 v7, v81, v7, 0x3ba1cafa
	v_fmaak_f32 v6, v81, v6, 0x3b8850ce
	v_fmaak_f32 v3, v81, v3, 0xbe6468ae
	v_fmaak_f32 v5, v81, v5, 0x3af08ca0
	v_fmaak_f32 v83, v81, v83, 0xbc567441
	v_fmaak_f32 v84, v81, v4, 0xbcbbb194
	v_fmaak_f32 v7, v81, v7, 0xbcb8bdde
	v_fmaak_f32 v85, v81, v6, 0xbc5230cf
	v_fmaak_f32 v86, v81, v5, 0xbb8f7421
	v_fmaak_f32 v3, v81, v3, 0x400dbc23
	v_fmaak_f32 v4, v81, v83, 0x3e7d5202
	v_fmaak_f32 v5, v81, v84, 0x3e23ab95
	v_fmaak_f32 v6, v81, v7, 0x3d8e611f
	v_fmaak_f32 v7, v81, v85, 0x3cb626f5
	v_fmaak_f32 v83, v81, v86, 0x3baff3ca
.LBB0_33:
	s_wait_alu 0xfffe
	s_or_b32 exec_lo, exec_lo, s0
                                        ; implicit-def: $vgpr81
.LBB0_34:
	s_wait_alu 0xfffe
	s_and_not1_saveexec_b32 s0, s9
	s_cbranch_execz .LBB0_36
; %bb.35:
	s_mov_b32 s1, 0xae44739a
	s_mov_b32 s2, 0x2f5455b2
	s_wait_alu 0xfffe
	v_fmaak_f32 v0, s1, v81, 0x30a78266
	s_mov_b32 s1, 0x31a6a427
	v_fmaak_f32 v1, s2, v81, 0xb19d1daf
	s_mov_b32 s2, 0xb2195195
	s_wait_alu 0xfffe
	v_fmaak_f32 v2, s1, v81, 0x340d3d23
	s_mov_b32 s1, 0xb48574d2
	v_fmaak_f32 v3, s2, v81, 0x32984a3e
	s_wait_alu 0xfffe
	v_fmaak_f32 v4, s1, v81, 0xb691c9c6
	s_mov_b32 s1, 0x318cbc57
	s_mov_b32 s3, 0xb32556fa
	;; [unrolled: 1-line block ×3, first 2 shown]
	v_fmaak_f32 v3, v81, v3, 0x364c0fc5
	v_fmaak_f32 v4, v81, v4, 0xb54841fc
	s_wait_alu 0xfffe
	v_fmaak_f32 v6, s3, v81, 0x35181824
	v_fmaak_f32 v7, s2, v81, 0xb415394f
	;; [unrolled: 1-line block ×16, first 2 shown]
	s_mov_b32 s1, 0xb221d38a
	v_fmaak_f32 v6, v81, v6, 0xb9a91af6
	v_fmaak_f32 v82, v81, v5, 0x4193524d
	s_wait_alu 0xfffe
	v_fmaak_f32 v5, s1, v81, 0x341e535e
	v_fmaak_f32 v4, v81, v4, 0x35350544
	s_mov_b32 s1, 0xb10c10db
	v_fmaak_f32 v1, v81, v1, 0x35ca49e0
	s_wait_alu 0xfffe
	v_fmaak_f32 v83, s1, v81, 0x33271f1f
	v_fmaak_f32 v5, v81, v5, 0xb5d355cf
	;; [unrolled: 1-line block ×46, first 2 shown]
.LBB0_36:
	s_wait_alu 0xfffe
	s_or_b32 exec_lo, exec_lo, s0
                                        ; implicit-def: $vgpr81
.LBB0_37:
	s_wait_alu 0xfffe
	s_and_not1_saveexec_b32 s0, s8
	s_cbranch_execz .LBB0_39
; %bb.38:
	s_mov_b32 s1, 0xbb0d784d
	s_mov_b32 s2, 0xbcb46f9c
	s_wait_alu 0xfffe
	v_fmaak_f32 v0, s1, v81, 0x3cb9ade5
	v_fmaak_f32 v1, s2, v81, 0x3e6cd27d
	s_mov_b32 s1, 0xbda7392a
	s_mov_b32 s2, 0xbe90feb9
	s_wait_alu 0xfffe
	v_fmaak_f32 v2, s1, v81, 0x3f5b7b07
	v_fmaak_f32 v3, s2, v81, 0x403e4e52
	;; [unrolled: 5-line block ×5, first 2 shown]
.LBB0_39:
	s_wait_alu 0xfffe
	s_or_b32 exec_lo, exec_lo, s0
	s_clause 0x3
	scratch_store_b128 off, v[0:3], s32
	scratch_store_b32 off, v82, s32 offset:16
	scratch_store_b128 off, v[4:7], s32 offset:32
	scratch_store_b32 off, v83, s32 offset:48
.LBB0_40:
	s_wait_alu 0xfffe
	s_or_b32 exec_lo, exec_lo, s7
                                        ; implicit-def: $vgpr81
.LBB0_41:
	s_wait_alu 0xfffe
	s_and_not1_saveexec_b32 s4, s6
	s_cbranch_execz .LBB0_81
; %bb.42:
	s_mov_b32 s6, exec_lo
	v_cmpx_eq_u32_e32 3, v24
	s_cbranch_execz .LBB0_80
; %bb.43:
	s_mov_b32 s0, exec_lo
                                        ; implicit-def: $vgpr7
                                        ; implicit-def: $vgpr3
	v_cmpx_ge_f32_e32 0x34a10fb0, v81
	s_wait_alu 0xfffe
	s_xor_b32 s0, exec_lo, s0
	s_cbranch_execz .LBB0_45
; %bb.44:
	s_mov_b32 s1, 0xbb863b96
	s_mov_b32 s2, 0xbd37ded9
	s_wait_alu 0xfffe
	v_fmaak_f32 v0, s1, v81, 0x3d0e9f4f
	v_fmaak_f32 v1, s2, v81, 0x3ec35cc6
	s_mov_b32 s1, 0xbe514b60
	s_mov_b32 s2, 0xbfb26435
	s_wait_alu 0xfffe
	v_fmaak_f32 v2, s1, v81, 0x3fde6016
	v_fmaak_f32 v3, s2, v81, 0x413d8a78
	;; [unrolled: 5-line block ×4, first 2 shown]
                                        ; implicit-def: $vgpr81
.LBB0_45:
	s_wait_alu 0xfffe
	s_and_not1_saveexec_b32 s7, s0
	s_cbranch_execz .LBB0_79
; %bb.46:
	s_mov_b32 s0, exec_lo
                                        ; implicit-def: $vgpr7
                                        ; implicit-def: $vgpr3
	v_cmpx_ge_f32_e32 1.0, v81
	s_wait_alu 0xfffe
	s_xor_b32 s0, exec_lo, s0
	s_cbranch_execz .LBB0_48
; %bb.47:
	s_mov_b32 s2, 0x30f3a70b
	s_mov_b32 s1, 0xaf56bec5
	s_wait_alu 0xfffe
	v_fmaak_f32 v1, s2, v81, 0x3310894f
	v_fmaak_f32 v0, s1, v81, 0x31b29714
	s_mov_b32 s1, 0xb2a2d38f
	s_mov_b32 s8, 0x31abae9b
	s_wait_alu 0xfffe
	v_fmaak_f32 v2, s1, v81, 0x34a521e7
	v_fmaak_f32 v1, v81, v1, 0xb48ab230
	;; [unrolled: 1-line block ×3, first 2 shown]
	s_mov_b32 s2, 0xb18d7751
	s_mov_b32 s3, 0xb312c10a
	v_fmaak_f32 v2, v81, v2, 0x35aa969a
	v_fmaak_f32 v1, v81, v1, 0xb73eaa1c
	s_wait_alu 0xfffe
	v_fmaak_f32 v3, s2, v81, 0x338ca700
	v_fmaak_f32 v4, s3, v81, 0x35082932
	;; [unrolled: 1-line block ×10, first 2 shown]
	s_mov_b32 s1, 0xb244f74c
	v_fmaak_f32 v3, v81, v3, 0x36e8cb38
	v_fmaak_f32 v4, v81, v4, 0x3830502e
	;; [unrolled: 1-line block ×5, first 2 shown]
	s_mov_b32 s2, 0xb371075f
	v_fmaak_f32 v0, v81, v0, 0xb3da8534
	v_fmaak_f32 v1, v81, v2, 0x3ec35cc6
	;; [unrolled: 1-line block ×3, first 2 shown]
	s_wait_alu 0xfffe
	v_fmaak_f32 v6, s1, v81, 0x3449e154
	v_fmaak_f32 v7, s2, v81, 0xb485f05f
	;; [unrolled: 1-line block ×36, first 2 shown]
                                        ; implicit-def: $vgpr81
.LBB0_48:
	s_wait_alu 0xfffe
	s_and_not1_saveexec_b32 s8, s0
	s_cbranch_execz .LBB0_78
; %bb.49:
	s_mov_b32 s0, exec_lo
                                        ; implicit-def: $vgpr7
                                        ; implicit-def: $vgpr3
	v_cmpx_ge_f32_e32 0x40a00000, v81
	s_wait_alu 0xfffe
	s_xor_b32 s0, exec_lo, s0
	s_cbranch_execz .LBB0_51
; %bb.50:
	v_add_f32_e32 v7, 0xc0400000, v81
	s_mov_b32 s10, 0xa68c7d15
	s_mov_b32 s9, 0x28235b54
	s_mov_b32 s3, 0x2b0d8684
	s_mov_b32 s2, 0x2a18ee80
	s_wait_alu 0xfffe
	v_fmaak_f32 v6, s10, v7, 0x288e2f5e
	v_fmaak_f32 v5, s9, v7, 0xaa1e3c47
	;; [unrolled: 1-line block ×3, first 2 shown]
	s_mov_b32 s3, 0xa883d0e0
	v_fmaak_f32 v1, s2, v7, 0xac21b027
	v_fmaak_f32 v6, v7, v6, 0xaa7d53a8
	s_wait_alu 0xfffe
	v_fmaak_f32 v4, s3, v7, 0x2a7e0d84
	v_fmaak_f32 v5, v7, v5, 0x2c070e7f
	s_mov_b32 s2, 0xa951c74e
	s_mov_b32 s1, 0xa6d61ce4
	v_fmaak_f32 v6, v7, v6, 0x2c5f4f4a
	v_fmaak_f32 v4, v7, v4, 0xac5b4987
	v_fmaak_f32 v5, v7, v5, 0xade52671
	s_wait_alu 0xfffe
	v_fmaak_f32 v3, s2, v7, 0x2b558be6
	v_fmaak_f32 v0, s1, v7, 0xaa160d59
	;; [unrolled: 1-line block ×5, first 2 shown]
	s_mov_b32 s1, 0xab98b6fb
	v_fmaak_f32 v3, v7, v3, 0xad50b625
	v_fmaak_f32 v6, v7, v6, 0x300a0690
	s_wait_alu 0xfffe
	v_fmaak_f32 v81, s1, v7, 0x2e8d10d0
	v_fmaak_f32 v4, v7, v4, 0xb01bf217
	;; [unrolled: 1-line block ×76, first 2 shown]
                                        ; implicit-def: $vgpr81
.LBB0_51:
	s_wait_alu 0xfffe
	s_and_not1_saveexec_b32 s9, s0
	s_cbranch_execz .LBB0_77
; %bb.52:
	s_mov_b32 s0, exec_lo
                                        ; implicit-def: $vgpr7
                                        ; implicit-def: $vgpr3
	v_cmpx_ge_f32_e32 0x41200000, v81
	s_wait_alu 0xfffe
	s_xor_b32 s0, exec_lo, s0
	s_cbranch_execz .LBB0_54
; %bb.53:
	v_add_f32_e32 v7, 0xc0f00000, v81
	s_mov_b32 s2, 0x290465b7
	s_mov_b32 s1, 0x27a7407e
	;; [unrolled: 1-line block ×4, first 2 shown]
	s_wait_alu 0xfffe
	v_fmaak_f32 v2, s2, v7, 0x2b6e9696
	s_mov_b32 s2, 0xa38f9ef6
	v_fmaak_f32 v1, s1, v7, 0xa7e238da
	s_wait_alu 0xfffe
	v_fmaak_f32 v81, s2, v7, 0x25944318
	s_mov_b32 s1, 0x253def64
	v_fmaak_f32 v5, s11, v7, 0x27e16f6a
	s_wait_alu 0xfffe
	v_fmaak_f32 v6, s1, v7, 0xa7417bc5
	v_fmaak_f32 v3, s10, v7, 0x2b58703b
	;; [unrolled: 1-line block ×3, first 2 shown]
	s_mov_b32 s3, 0x290430f6
	v_fmaak_f32 v5, v7, v5, 0xa9d97501
	v_fmaak_f32 v6, v7, v6, 0x292aa2ef
	s_wait_alu 0xfffe
	v_fmaak_f32 v0, s3, v7, 0xa9901fe5
	v_fmaak_f32 v81, v7, v81, 0x296bc062
	s_mov_b32 s3, 0xa6ef395d
	v_fmaak_f32 v3, v7, v3, 0x2ccacda3
	v_fmaak_f32 v6, v7, v6, 0xab1b0ff1
	s_wait_alu 0xfffe
	v_fmaak_f32 v4, s3, v7, 0x299bc9cd
	v_fmaak_f32 v81, v7, v81, 0xab46ebdc
	;; [unrolled: 1-line block ×83, first 2 shown]
                                        ; implicit-def: $vgpr81
.LBB0_54:
	s_wait_alu 0xfffe
	s_and_not1_saveexec_b32 s10, s0
	s_cbranch_execz .LBB0_76
; %bb.55:
                                        ; implicit-def: $vgpr7
                                        ; implicit-def: $vgpr3
	s_mov_b32 s0, exec_lo
	v_cmpx_ge_f32_e32 0x41700000, v81
	s_wait_alu 0xfffe
	s_xor_b32 s1, exec_lo, s0
	s_cbranch_execz .LBB0_57
; %bb.56:
	v_div_scale_f32 v0, null, v81, v81, 0xbe405aee
	v_div_scale_f32 v3, vcc_lo, 0xbe405aee, v81, 0xbe405aee
	s_mov_b32 s3, 0x260d0261
	v_rcp_f32_e32 v1, v0
	s_mov_b32 s12, 0x2950b415
	s_mov_b32 s2, 0x246437e5
	;; [unrolled: 1-line block ×5, first 2 shown]
	v_div_scale_f32 v82, s0, 0x3f490fdb, v81, 0x3f490fdb
	s_mov_b32 s15, 0xa7e03286
	s_delay_alu instid0(TRANS32_DEP_1) | instskip(NEXT) | instid1(VALU_DEP_1)
	v_fma_f32 v2, -v0, v1, 1.0
	v_fmac_f32_e32 v1, v2, v1
	s_delay_alu instid0(VALU_DEP_1) | instskip(NEXT) | instid1(VALU_DEP_1)
	v_mul_f32_e32 v2, v3, v1
	v_fma_f32 v4, -v0, v2, v3
	s_delay_alu instid0(VALU_DEP_1) | instskip(NEXT) | instid1(VALU_DEP_1)
	v_fmac_f32_e32 v2, v4, v1
	v_fma_f32 v0, -v0, v2, v3
	s_wait_alu 0xfffd
	s_delay_alu instid0(VALU_DEP_1) | instskip(NEXT) | instid1(VALU_DEP_1)
	v_div_fmas_f32 v0, v0, v1, v2
	v_div_fixup_f32 v0, v0, v81, 0xbe405aee
	s_delay_alu instid0(VALU_DEP_1) | instskip(NEXT) | instid1(VALU_DEP_1)
	v_add_f32_e32 v0, 0x3e6b6fc1, v0
	v_div_scale_f32 v1, null, v81, v81, v0
	v_div_scale_f32 v4, vcc_lo, v0, v81, v0
	s_delay_alu instid0(VALU_DEP_2) | instskip(NEXT) | instid1(TRANS32_DEP_1)
	v_rcp_f32_e32 v2, v1
	v_fma_f32 v3, -v1, v2, 1.0
	s_delay_alu instid0(VALU_DEP_1) | instskip(NEXT) | instid1(VALU_DEP_1)
	v_dual_fmac_f32 v2, v3, v2 :: v_dual_add_f32 v3, 0xc1480000, v81
	v_mul_f32_e32 v5, v4, v2
	s_wait_alu 0xfffe
	s_delay_alu instid0(VALU_DEP_2) | instskip(NEXT) | instid1(VALU_DEP_2)
	v_fmaak_f32 v83, s3, v3, 0x283fa7d8
	v_fma_f32 v6, -v1, v5, v4
	s_delay_alu instid0(VALU_DEP_1) | instskip(SKIP_1) | instid1(VALU_DEP_2)
	v_fmac_f32_e32 v5, v6, v2
	v_div_scale_f32 v6, null, v81, v81, 0x3f490fdb
	v_fma_f32 v1, -v1, v5, v4
	s_delay_alu instid0(VALU_DEP_2) | instskip(SKIP_2) | instid1(VALU_DEP_2)
	v_rcp_f32_e32 v96, v6
	v_fmaak_f32 v4, s2, v3, 0x26679cea
	s_wait_alu 0xfffd
	v_div_fmas_f32 v1, v1, v2, v5
	v_fmaak_f32 v2, s11, v3, 0x29fcf12e
	v_fmaak_f32 v5, s12, v3, 0xa954e934
	s_delay_alu instid0(VALU_DEP_3) | instskip(NEXT) | instid1(VALU_DEP_1)
	v_div_fixup_f32 v0, v1, v81, v0
	v_add_f32_e32 v0, 0xbeff74bd, v0
	s_delay_alu instid0(VALU_DEP_1) | instskip(NEXT) | instid1(VALU_DEP_1)
	v_div_scale_f32 v97, null, v81, v81, v0
	v_rcp_f32_e32 v98, v97
	s_delay_alu instid0(TRANS32_DEP_1) | instskip(NEXT) | instid1(VALU_DEP_1)
	v_fma_f32 v99, -v97, v98, 1.0
	v_dual_mul_f32 v7, 0xbfb8aa3b, v81 :: v_dual_fmac_f32 v98, v99, v98
	s_delay_alu instid0(VALU_DEP_1) | instskip(SKIP_1) | instid1(VALU_DEP_2)
	v_rndne_f32_e32 v86, v7
	v_fma_f32 v87, 0xbfb8aa3b, v81, -v7
	v_dual_fmaak_f32 v84, s13, v3, 0xa455b366 :: v_dual_sub_f32 v7, v7, v86
	s_delay_alu instid0(VALU_DEP_2) | instskip(SKIP_1) | instid1(VALU_DEP_2)
	v_fmamk_f32 v87, v81, 0xb2a5705f, v87
	v_cvt_i32_f32_e32 v86, v86
	v_add_f32_e32 v7, v7, v87
	v_fma_f32 v87, -v6, v96, 1.0
	v_div_scale_f32 v100, vcc_lo, v0, v81, v0
	v_fmaak_f32 v85, s14, v3, 0x262b4edc
	v_fmaak_f32 v4, v3, v4, 0xa7c9bad2
	s_delay_alu instid0(VALU_DEP_3) | instskip(SKIP_2) | instid1(VALU_DEP_2)
	v_dual_fmac_f32 v96, v87, v96 :: v_dual_mul_f32 v87, v100, v98
	v_fmaak_f32 v2, v3, v2, 0xad1f3a81
	v_exp_f32_e32 v7, v7
	v_mul_f32_e32 v99, v82, v96
	s_delay_alu instid0(VALU_DEP_3) | instskip(SKIP_1) | instid1(VALU_DEP_3)
	v_fma_f32 v101, -v97, v87, v100
	v_fmaak_f32 v84, v3, v84, 0x2634d615
	v_fma_f32 v102, -v6, v99, v82
	s_delay_alu instid0(VALU_DEP_3) | instskip(SKIP_1) | instid1(TRANS32_DEP_1)
	v_fmac_f32_e32 v87, v101, v98
	v_fmaak_f32 v2, v3, v2, 0xae524e41
	v_ldexp_f32 v7, v7, v86
	s_delay_alu instid0(VALU_DEP_4) | instskip(NEXT) | instid1(VALU_DEP_4)
	v_fmac_f32_e32 v99, v102, v96
	v_fma_f32 v97, -v97, v87, v100
	s_delay_alu instid0(VALU_DEP_4) | instskip(NEXT) | instid1(VALU_DEP_3)
	v_fmaak_f32 v2, v3, v2, 0x30e44339
	v_fma_f32 v6, -v6, v99, v82
	s_wait_alu 0xfffd
	s_delay_alu instid0(VALU_DEP_3)
	v_div_fmas_f32 v82, v97, v98, v87
	s_mov_b32 vcc_lo, s0
	v_fmaak_f32 v2, v3, v2, 0x2ff756a0
	s_wait_alu 0xfffe
	v_div_fmas_f32 v6, v6, v96, v99
	v_div_fixup_f32 v0, v82, v81, v0
	s_delay_alu instid0(VALU_DEP_3) | instskip(NEXT) | instid1(VALU_DEP_3)
	v_fmaak_f32 v2, v3, v2, 0xb487446d
	v_div_fixup_f32 v6, v6, v81, 0x3f490fdb
	s_delay_alu instid0(VALU_DEP_3) | instskip(NEXT) | instid1(VALU_DEP_3)
	v_add_f32_e32 v0, 0xb7b7d95a, v0
	v_fmaak_f32 v2, v3, v2, 0x36a703eb
	s_delay_alu instid0(VALU_DEP_3) | instskip(SKIP_2) | instid1(VALU_DEP_4)
	v_mul_f32_e32 v87, 0x4f800000, v6
	v_cmp_gt_f32_e32 vcc_lo, 0xf800000, v6
	v_fmaak_f32 v5, v3, v5, 0xad3042c6
	v_fmaak_f32 v2, v3, v2, 0xb903f8d8
	s_wait_alu 0xfffd
	s_delay_alu instid0(VALU_DEP_2) | instskip(NEXT) | instid1(VALU_DEP_1)
	v_dual_cndmask_b32 v6, v6, v87 :: v_dual_fmaak_f32 v5, v3, v5, 0x2e859230
	v_sqrt_f32_e32 v87, v6
	v_fmaak_f32 v85, v3, v85, 0xa84ef2f0
	v_fmaak_f32 v4, v3, v4, 0xaa1b39e8
	s_delay_alu instid0(VALU_DEP_3)
	v_fmaak_f32 v5, v3, v5, 0x30d8bcf1
	s_delay_alu instid0(TRANS32_DEP_1) | instid1(VALU_DEP_1)
	v_dual_fmaak_f32 v5, v3, v5, 0xb2acd15c :: v_dual_add_nc_u32 v96, -1, v87
	v_add_nc_u32_e32 v97, 1, v87
	v_fmaak_f32 v85, v3, v85, 0x2a53d0e5
	s_delay_alu instid0(VALU_DEP_3) | instskip(NEXT) | instid1(VALU_DEP_4)
	v_fmaak_f32 v5, v3, v5, 0xb4462346
	v_fma_f32 v98, -v96, v87, v6
	s_delay_alu instid0(VALU_DEP_4) | instskip(NEXT) | instid1(VALU_DEP_4)
	v_fma_f32 v99, -v97, v87, v6
	v_fmaak_f32 v85, v3, v85, 0xac29d6bc
	s_delay_alu instid0(VALU_DEP_4) | instskip(NEXT) | instid1(VALU_DEP_4)
	v_fmaak_f32 v5, v3, v5, 0x36a88e15
	v_cmp_ge_f32_e64 s0, 0, v98
	s_delay_alu instid0(VALU_DEP_3) | instskip(NEXT) | instid1(VALU_DEP_3)
	v_fmaak_f32 v85, v3, v85, 0x2e144ec8
	v_fmaak_f32 v5, v3, v5, 0x37223ab1
	s_wait_alu 0xf1ff
	s_delay_alu instid0(VALU_DEP_3) | instskip(SKIP_4) | instid1(VALU_DEP_3)
	v_cndmask_b32_e64 v87, v87, v96, s0
	v_cmp_lt_f32_e64 s0, 0, v99
	v_fmaak_f32 v85, v3, v85, 0xb0079fdc
	v_fmaak_f32 v5, v3, v5, 0xbacfc73a
	s_wait_alu 0xf1ff
	v_cndmask_b32_e64 v87, v87, v97, s0
	v_cmp_nlt_f32_e64 s0, 0x42ce8ed0, v81
	v_fmaak_f32 v85, v3, v85, 0x31d229b4
	s_delay_alu instid0(VALU_DEP_3) | instskip(SKIP_1) | instid1(VALU_DEP_3)
	v_mul_f32_e32 v86, 0x37800000, v87
	s_wait_alu 0xf1ff
	v_cndmask_b32_e64 v7, 0, v7, s0
	s_delay_alu instid0(VALU_DEP_3) | instskip(NEXT) | instid1(VALU_DEP_3)
	v_fmaak_f32 v85, v3, v85, 0xb38fdfc1
	v_cndmask_b32_e32 v82, v87, v86, vcc_lo
	v_cmp_ngt_f32_e32 vcc_lo, 0xc2b17218, v81
	s_delay_alu instid0(VALU_DEP_3)
	v_fmaak_f32 v85, v3, v85, 0x3549f72a
	s_wait_alu 0xfffd
	v_cndmask_b32_e32 v81, 0x7f800000, v7, vcc_lo
	v_cmp_class_f32_e64 vcc_lo, v6, 0x260
	v_fmaak_f32 v83, v3, v83, 0xa975471b
	s_wait_alu 0xfffd
	v_dual_fmaak_f32 v85, v3, v85, 0xb707adc3 :: v_dual_cndmask_b32 v82, v82, v6
	v_fmaak_f32 v1, s15, v3, 0x29ea7905
	s_delay_alu instid0(VALU_DEP_2) | instskip(SKIP_1) | instid1(VALU_DEP_3)
	v_dual_fmaak_f32 v85, v3, v85, 0x3890691d :: v_dual_fmac_f32 v82, v81, v0
	v_fmaak_f32 v84, v3, v84, 0xa820fa09
	v_fmaak_f32 v1, v3, v1, 0xab4098d2
	s_delay_alu instid0(VALU_DEP_3)
	v_fmaak_f32 v6, v3, v85, 0xb9f4e0b0
	v_fmaak_f32 v0, v3, v2, 0x3b312152
	;; [unrolled: 1-line block ×6, first 2 shown]
	s_delay_alu instid0(VALU_DEP_3) | instskip(NEXT) | instid1(VALU_DEP_3)
	v_fmaak_f32 v84, v3, v84, 0xabccc660
	v_fmaak_f32 v1, v3, v1, 0xafe71d52
	s_delay_alu instid0(VALU_DEP_2) | instskip(NEXT) | instid1(VALU_DEP_2)
	v_fmaak_f32 v84, v3, v84, 0x2d9055f8
	v_fmaak_f32 v1, v3, v1, 0x31d8074a
	s_delay_alu instid0(VALU_DEP_2) | instskip(NEXT) | instid1(VALU_DEP_2)
	;; [unrolled: 3-line block ×7, first 2 shown]
	v_fmaak_f32 v84, v3, v84, 0x368a4c39
	v_fmaak_f32 v5, v3, v1, 0x3d7654f6
	s_delay_alu instid0(VALU_DEP_2) | instskip(NEXT) | instid1(VALU_DEP_1)
	v_fmaak_f32 v84, v3, v84, 0xb7928169
	v_fmaak_f32 v7, v3, v84, 0x38b2519b
	s_delay_alu instid0(VALU_DEP_1) | instskip(NEXT) | instid1(VALU_DEP_1)
	v_dual_fmaak_f32 v84, v3, v2, 0xbe8ed30c :: v_dual_sub_f32 v81, v82, v7
	v_dual_fmaak_f32 v4, v3, v4, 0x2b45373d :: v_dual_sub_f32 v81, v81, v6
	v_fmaak_f32 v83, v3, v83, 0xabe31927
	s_delay_alu instid0(VALU_DEP_2) | instskip(NEXT) | instid1(VALU_DEP_2)
	v_fmaak_f32 v4, v3, v4, 0x2d656312
	v_fmaak_f32 v83, v3, v83, 0x2c8993c3
	s_delay_alu instid0(VALU_DEP_2) | instskip(NEXT) | instid1(VALU_DEP_2)
	v_fmaak_f32 v4, v3, v4, 0x2eb17559
	;; [unrolled: 3-line block ×7, first 2 shown]
	v_fmaak_f32 v83, v3, v83, 0x3a011083
	s_delay_alu instid0(VALU_DEP_1) | instskip(SKIP_1) | instid1(VALU_DEP_4)
	v_fmaak_f32 v82, v3, v83, 0xbc0e48f3
	v_fmaak_f32 v83, v3, v0, 0xbd23908f
	;; [unrolled: 1-line block ×3, first 2 shown]
	v_sub_f32_e32 v4, v81, v5
                                        ; implicit-def: $vgpr81
	s_delay_alu instid0(VALU_DEP_4) | instskip(NEXT) | instid1(VALU_DEP_4)
	v_fmaak_f32 v1, v3, v82, 0x3ded362a
	v_fmaak_f32 v2, v3, v83, 0x3eddef6a
	;; [unrolled: 1-line block ×3, first 2 shown]
.LBB0_57:
	s_wait_alu 0xfffe
	s_and_not1_saveexec_b32 s11, s1
	s_cbranch_execz .LBB0_75
; %bb.58:
                                        ; implicit-def: $vgpr7
                                        ; implicit-def: $vgpr3
	s_mov_b32 s0, exec_lo
	v_cmpx_ge_f32_e32 0x41a00000, v81
	s_wait_alu 0xfffe
	s_xor_b32 s2, exec_lo, s0
	s_cbranch_execz .LBB0_60
; %bb.59:
	v_div_scale_f32 v0, null, v81, v81, 0x3f490fdb
	v_div_scale_f32 v1, vcc_lo, 0x3f490fdb, v81, 0x3f490fdb
	s_mov_b32 s1, 0x244964a5
	v_rcp_f32_e32 v2, v0
	v_div_scale_f32 v4, null, v81, v81, 0x3e48f136
	s_mov_b32 s12, 0x2709fd34
	s_mov_b32 s15, 0xa47fb206
	v_div_scale_f32 v6, s0, 0x3e48f136, v81, 0x3e48f136
	v_rcp_f32_e32 v96, v4
	s_mov_b32 s13, 0xa7c3e343
	s_mov_b32 s14, 0xa15f6467
	s_delay_alu instid0(TRANS32_DEP_2) | instskip(SKIP_4) | instid1(VALU_DEP_1)
	v_fma_f32 v5, -v0, v2, 1.0
	v_add_f32_e32 v3, 0xc18c0000, v81
	s_mov_b32 s16, 0xa55706df
	s_mov_b32 s3, 0x260fcd4b
	s_wait_alu 0xfffe
	v_dual_fmac_f32 v2, v5, v2 :: v_dual_fmaak_f32 v7, s1, v3, 0xa5021e92
	v_fmaak_f32 v85, s15, v3, 0x259aec42
	v_fmaak_f32 v84, s14, v3, 0x230b0101
	s_delay_alu instid0(VALU_DEP_3) | instskip(NEXT) | instid1(VALU_DEP_3)
	v_dual_mul_f32 v86, v1, v2 :: v_dual_fmaak_f32 v7, v3, v7, 0xa7dd9259
	v_fmaak_f32 v85, v3, v85, 0x28730492
	s_delay_alu instid0(VALU_DEP_3) | instskip(NEXT) | instid1(VALU_DEP_3)
	v_fmaak_f32 v84, v3, v84, 0xa5056e00
	v_fma_f32 v97, -v0, v86, v1
	v_fmaak_f32 v5, s12, v3, 0x28861042
	s_delay_alu instid0(VALU_DEP_2) | instskip(NEXT) | instid1(VALU_DEP_2)
	v_dual_fmaak_f32 v7, v3, v7, 0x29830f5a :: v_dual_fmac_f32 v86, v97, v2
	v_fmaak_f32 v5, v3, v5, 0xaaf30573
	s_delay_alu instid0(VALU_DEP_2) | instskip(NEXT) | instid1(VALU_DEP_3)
	v_fmaak_f32 v7, v3, v7, 0x2af781ba
	v_fma_f32 v0, -v0, v86, v1
	s_delay_alu instid0(VALU_DEP_3) | instskip(NEXT) | instid1(VALU_DEP_3)
	v_fmaak_f32 v5, v3, v5, 0x2ba6fc04
	v_fmaak_f32 v7, v3, v7, 0xad5ab96b
	s_wait_alu 0xfffd
	s_delay_alu instid0(VALU_DEP_3)
	v_div_fmas_f32 v0, v0, v2, v86
	v_fmaak_f32 v2, v3, v85, 0xaa8d2834
	v_fma_f32 v85, -v4, v96, 1.0
	v_fmaak_f32 v83, s13, v3, 0xa9fd4a43
	v_fmaak_f32 v7, v3, v7, 0x2e9392a4
	v_div_fixup_f32 v0, v0, v81, 0x3f490fdb
	s_mov_b32 vcc_lo, s0
	s_delay_alu instid0(VALU_DEP_3) | instskip(SKIP_1) | instid1(VALU_DEP_3)
	v_dual_fmac_f32 v96, v85, v96 :: v_dual_fmaak_f32 v83, v3, v83, 0x2c46e7a4
	v_fmaak_f32 v5, v3, v5, 0x2e4b015d
	v_mul_f32_e32 v85, 0x4f800000, v0
	v_cmp_gt_f32_e64 s1, 0xf800000, v0
	s_delay_alu instid0(VALU_DEP_4)
	v_dual_mul_f32 v86, v6, v96 :: v_dual_fmaak_f32 v1, v3, v83, 0xad5ed8a6
	v_fmaak_f32 v83, v3, v84, 0x272dbeb2
	v_fmaak_f32 v5, v3, v5, 0xb0185ff0
	s_wait_alu 0xf1ff
	v_cndmask_b32_e64 v0, v0, v85, s1
	v_fma_f32 v85, -v4, v86, v6
	v_fmaak_f32 v87, s16, v3, 0x26a8205b
	v_fmaak_f32 v83, v3, v83, 0xa92235dd
	v_fmaak_f32 v5, v3, v5, 0x2fbfbfd3
	s_delay_alu instid0(VALU_DEP_4) | instskip(NEXT) | instid1(VALU_DEP_4)
	v_dual_fmaak_f32 v1, v3, v1, 0xafea2032 :: v_dual_fmac_f32 v86, v85, v96
	v_fmaak_f32 v87, v3, v87, 0x28e6eb32
	s_delay_alu instid0(VALU_DEP_4) | instskip(NEXT) | instid1(VALU_DEP_4)
	v_fmaak_f32 v83, v3, v83, 0x2ae5cdfe
	v_fmaak_f32 v5, v3, v5, 0xb13fdb72
	s_delay_alu instid0(VALU_DEP_4)
	v_fmaak_f32 v1, v3, v1, 0x32226ef1
	v_fma_f32 v4, -v4, v86, v6
	v_fmaak_f32 v84, v3, v87, 0xaafd3c12
	v_sqrt_f32_e32 v87, v0
	v_fmaak_f32 v6, v3, v7, 0x2f8610fa
	v_fmaak_f32 v5, v3, v5, 0x360ca2af
	s_wait_alu 0xfffe
	v_div_fmas_f32 v4, v4, v96, v86
	v_fmaak_f32 v84, v3, v84, 0x2bf86dd2
	v_fmaak_f32 v1, v3, v1, 0xb37bf545
	;; [unrolled: 1-line block ×3, first 2 shown]
	s_delay_alu instid0(VALU_DEP_4) | instskip(NEXT) | instid1(TRANS32_DEP_1)
	v_div_fixup_f32 v4, v4, v81, 0x3e48f136
	v_add_nc_u32_e32 v7, -1, v87
	s_delay_alu instid0(VALU_DEP_3) | instskip(SKIP_2) | instid1(VALU_DEP_4)
	v_dual_fmaak_f32 v6, v3, v6, 0xb57a6150 :: v_dual_add_nc_u32 v85, 1, v87
	v_fmaak_f32 v2, v3, v2, 0x2c08d21c
	v_fmaak_f32 v1, v3, v1, 0xb5aceb61
	v_fma_f32 v86, -v7, v87, v0
	s_delay_alu instid0(VALU_DEP_4)
	v_fma_f32 v96, -v85, v87, v0
	v_fmaak_f32 v6, v3, v6, 0x37c88368
	v_fmaak_f32 v2, v3, v2, 0xad646058
	;; [unrolled: 1-line block ×3, first 2 shown]
	v_cmp_ge_f32_e32 vcc_lo, 0, v86
	v_add_f32_e32 v4, 0xbefe708c, v4
	s_delay_alu instid0(VALU_DEP_4) | instskip(NEXT) | instid1(VALU_DEP_4)
	v_fmaak_f32 v2, v3, v2, 0x2fc066fe
	v_fmaak_f32 v1, v3, v1, 0xba47af66
	s_wait_alu 0xfffd
	v_cndmask_b32_e32 v7, v87, v7, vcc_lo
	v_cmp_lt_f32_e32 vcc_lo, 0, v96
	v_fmaak_f32 v96, v3, v6, 0xb9f5b4e6
	v_fmaak_f32 v6, v3, v83, 0xac96ecc5
	;; [unrolled: 1-line block ×4, first 2 shown]
	s_wait_alu 0xfffd
	v_cndmask_b32_e32 v7, v7, v85, vcc_lo
	v_div_scale_f32 v85, null, v81, v81, v4
	v_cmp_class_f32_e64 vcc_lo, v0, 0x260
	v_fmaak_f32 v83, v3, v83, 0x3009251a
	s_delay_alu instid0(VALU_DEP_4) | instskip(NEXT) | instid1(VALU_DEP_4)
	v_mul_f32_e32 v86, 0x37800000, v7
	v_rcp_f32_e32 v87, v85
	v_fmaak_f32 v6, v3, v6, 0x2e5fb89c
	v_fmaak_f32 v2, v3, v2, 0x340d11c4
	;; [unrolled: 1-line block ×3, first 2 shown]
	v_cndmask_b32_e64 v7, v7, v86, s1
	v_fmaak_f32 v86, v3, v5, 0xb88de000
	v_fmaak_f32 v6, v3, v6, 0xb02eaacd
	;; [unrolled: 1-line block ×4, first 2 shown]
	s_wait_alu 0xfffd
	v_dual_cndmask_b32 v0, v7, v0 :: v_dual_mul_f32 v7, 0xbfb8aa3b, v81
	v_fma_f32 v5, -v85, v87, 1.0
	v_fmaak_f32 v6, v3, v6, 0x31ea7090
	v_fmaak_f32 v83, v3, v83, 0xb6b85841
	;; [unrolled: 1-line block ×3, first 2 shown]
	v_rndne_f32_e32 v84, v7
	v_fmaak_f32 v82, s3, v3, 0xa5964d55
	v_fmac_f32_e32 v87, v5, v87
	v_div_scale_f32 v5, vcc_lo, v4, v81, v4
	v_fma_f32 v97, 0xbfb8aa3b, v81, -v7
	v_sub_f32_e32 v7, v7, v84
	v_fmaak_f32 v82, v3, v82, 0xa9af14ba
	s_delay_alu instid0(VALU_DEP_4)
	v_mul_f32_e32 v98, v5, v87
	v_cvt_i32_f32_e32 v84, v84
	v_fmamk_f32 v97, v81, 0xb2a5705f, v97
	v_fmaak_f32 v83, v3, v83, 0x38a2554e
	v_fmaak_f32 v6, v3, v6, 0xb371f7b0
	v_fma_f32 v99, -v85, v98, v5
	v_fmaak_f32 v2, v3, v2, 0xb91516ad
	v_add_f32_e32 v7, v7, v97
	v_fmaak_f32 v1, v3, v1, 0x3c1e48ca
	v_fmaak_f32 v6, v3, v6, 0x34bfaa71
	v_fmac_f32_e32 v98, v99, v87
	s_delay_alu instid0(VALU_DEP_4) | instskip(NEXT) | instid1(VALU_DEP_1)
	v_exp_f32_e32 v7, v7
	v_fma_f32 v5, -v85, v98, v5
	s_wait_alu 0xfffd
	s_delay_alu instid0(VALU_DEP_1) | instskip(SKIP_1) | instid1(TRANS32_DEP_1)
	v_div_fmas_f32 v5, v5, v87, v98
	v_cmp_nlt_f32_e32 vcc_lo, 0x42ce8ed0, v81
	v_ldexp_f32 v7, v7, v84
	v_fmaak_f32 v82, v3, v82, 0x2b224d2b
	s_delay_alu instid0(VALU_DEP_4) | instskip(SKIP_1) | instid1(VALU_DEP_2)
	v_div_fixup_f32 v4, v5, v81, v4
	s_wait_alu 0xfffd
	v_dual_cndmask_b32 v5, 0, v7 :: v_dual_fmaak_f32 v82, v3, v82, 0x2ce25495
	v_cmp_ngt_f32_e32 vcc_lo, 0xc2b17218, v81
	v_fmaak_f32 v7, v3, v83, 0xbac24051
	v_add_f32_e32 v4, 0xb87c50a3, v4
	s_delay_alu instid0(VALU_DEP_4)
	v_fmaak_f32 v82, v3, v82, 0xaf1975f0
	s_wait_alu 0xfffd
	v_cndmask_b32_e32 v81, 0x7f800000, v5, vcc_lo
	v_fmaak_f32 v5, v3, v7, 0x3d4be9ee
	v_fmaak_f32 v7, v3, v6, 0xb6211849
	;; [unrolled: 1-line block ×4, first 2 shown]
	v_fmac_f32_e32 v0, v81, v4
	v_fmaak_f32 v4, v3, v86, 0x3aad2f6d
	v_fmaak_f32 v81, v3, v1, 0xbdcfb058
	;; [unrolled: 1-line block ×4, first 2 shown]
	v_sub_f32_e32 v0, v0, v5
	v_fmaak_f32 v4, v3, v4, 0xbca7fca6
	s_delay_alu instid0(VALU_DEP_3) | instskip(NEXT) | instid1(VALU_DEP_1)
	v_fmaak_f32 v82, v3, v82, 0x3484de2d
	v_fmaak_f32 v82, v3, v82, 0xb74073be
	s_delay_alu instid0(VALU_DEP_1) | instskip(NEXT) | instid1(VALU_DEP_1)
	v_fmaak_f32 v82, v3, v82, 0x398e36e3
	v_fmaak_f32 v2, v3, v82, 0xbba2cbac
	v_sub_f32_e32 v82, v0, v6
	v_fmaak_f32 v0, v3, v96, 0x3c08cd82
	s_delay_alu instid0(VALU_DEP_3) | instskip(SKIP_1) | instid1(VALU_DEP_4)
	v_fmaak_f32 v1, v3, v2, 0x3da92b45
	v_fmaak_f32 v2, v3, v4, 0x3e937dbd
	v_dual_fmaak_f32 v3, v3, v81, 0x3f746830 :: v_dual_sub_f32 v4, v82, v7
                                        ; implicit-def: $vgpr81
.LBB0_60:
	s_wait_alu 0xfffe
	s_and_not1_saveexec_b32 s12, s2
	s_cbranch_execz .LBB0_74
; %bb.61:
                                        ; implicit-def: $vgpr7
                                        ; implicit-def: $vgpr3
	s_mov_b32 s0, exec_lo
	v_cmpx_ge_f32_e32 0x420c0000, v81
	s_wait_alu 0xfffe
	s_xor_b32 s2, exec_lo, s0
	s_cbranch_execz .LBB0_67
; %bb.62:
	s_mov_b32 s0, exec_lo
                                        ; implicit-def: $vgpr1
	v_cmpx_ge_f32_e32 0x41c80000, v81
	s_wait_alu 0xfffe
	s_xor_b32 s0, exec_lo, s0
	s_cbranch_execz .LBB0_64
; %bb.63:
	v_div_scale_f32 v0, null, v81, v81, 0x4681b030
	s_mov_b32 s1, 0x347b012a
	s_wait_alu 0xfffe
	v_fmaak_f32 v3, s1, v81, 0xb82007dc
	v_rcp_f32_e32 v1, v0
	s_delay_alu instid0(VALU_DEP_1) | instskip(NEXT) | instid1(VALU_DEP_1)
	v_fmaak_f32 v3, v81, v3, 0x3b664dec
	v_fmaak_f32 v3, v81, v3, 0xbe2a8916
	s_delay_alu instid0(TRANS32_DEP_1) | instskip(NEXT) | instid1(VALU_DEP_2)
	v_fma_f32 v2, -v0, v1, 1.0
	v_fmaak_f32 v3, v81, v3, 0x40999a1a
	s_delay_alu instid0(VALU_DEP_2) | instskip(SKIP_1) | instid1(VALU_DEP_1)
	v_fmac_f32_e32 v1, v2, v1
	v_div_scale_f32 v2, vcc_lo, 0x4681b030, v81, 0x4681b030
	v_mul_f32_e32 v4, v2, v1
	s_delay_alu instid0(VALU_DEP_1) | instskip(NEXT) | instid1(VALU_DEP_1)
	v_fma_f32 v5, -v0, v4, v2
	v_fmac_f32_e32 v4, v5, v1
	s_delay_alu instid0(VALU_DEP_1) | instskip(SKIP_2) | instid1(VALU_DEP_2)
	v_fma_f32 v0, -v0, v4, v2
	v_fmaak_f32 v2, v81, v3, 0xc2aea219
	s_wait_alu 0xfffd
	v_div_fmas_f32 v0, v0, v1, v4
	s_delay_alu instid0(VALU_DEP_2) | instskip(NEXT) | instid1(VALU_DEP_2)
	v_fmaak_f32 v1, v81, v2, 0x44746bc1
	v_div_fixup_f32 v0, v0, v81, 0x4681b030
	s_delay_alu instid0(VALU_DEP_1) | instskip(NEXT) | instid1(VALU_DEP_1)
	v_fmac_f32_e32 v0, v81, v1
	v_add_f32_e32 v1, 0xc5c00653, v0
.LBB0_64:
	s_wait_alu 0xfffe
	s_and_not1_saveexec_b32 s0, s0
; %bb.65:
	s_mov_b32 s1, 0x36c0af5a
	s_wait_alu 0xfffe
	v_fmaak_f32 v0, s1, v81, 0xb89f1e53
	s_delay_alu instid0(VALU_DEP_1) | instskip(NEXT) | instid1(VALU_DEP_1)
	v_fmaak_f32 v0, v81, v0, 0x39767de4
	v_fmaak_f32 v0, v81, v0, 0xbb784221
	s_delay_alu instid0(VALU_DEP_1) | instskip(NEXT) | instid1(VALU_DEP_1)
	v_fmaak_f32 v0, v81, v0, 0x3e9ea77f
	v_fmaak_f32 v0, v81, v0, 0xc0e38e05
	s_delay_alu instid0(VALU_DEP_1)
	v_fmaak_f32 v1, v81, v0, 0x425e1e79
; %bb.66:
	s_or_b32 exec_lo, exec_lo, s0
	v_div_scale_f32 v0, null, v81, v81, 0x3f490fdb
	v_div_scale_f32 v2, null, v81, v81, 0xca194e71
	v_div_scale_f32 v7, vcc_lo, 0x3f490fdb, v81, 0x3f490fdb
	s_delay_alu instid0(VALU_DEP_3) | instskip(NEXT) | instid1(VALU_DEP_2)
	v_rcp_f32_e32 v3, v0
	v_rcp_f32_e32 v4, v2
	s_mov_b32 s13, 0xbe739c2f
	s_mov_b32 s3, 0xbda0e4fa
	;; [unrolled: 1-line block ×4, first 2 shown]
	s_delay_alu instid0(TRANS32_DEP_2) | instskip(NEXT) | instid1(TRANS32_DEP_1)
	v_fma_f32 v5, -v0, v3, 1.0
	v_fma_f32 v6, -v2, v4, 1.0
	s_delay_alu instid0(VALU_DEP_1) | instskip(SKIP_1) | instid1(VALU_DEP_2)
	v_dual_fmac_f32 v3, v5, v3 :: v_dual_fmac_f32 v4, v6, v4
	v_div_scale_f32 v5, s0, 0xca194e71, v81, 0xca194e71
	v_mul_f32_e32 v6, v7, v3
	s_delay_alu instid0(VALU_DEP_2) | instskip(NEXT) | instid1(VALU_DEP_2)
	v_mul_f32_e32 v82, v5, v4
	v_fma_f32 v83, -v0, v6, v7
	s_delay_alu instid0(VALU_DEP_2) | instskip(NEXT) | instid1(VALU_DEP_2)
	v_fma_f32 v84, -v2, v82, v5
	v_fmac_f32_e32 v6, v83, v3
	s_delay_alu instid0(VALU_DEP_2) | instskip(NEXT) | instid1(VALU_DEP_2)
	v_fmac_f32_e32 v82, v84, v4
	v_fma_f32 v0, -v0, v6, v7
	s_delay_alu instid0(VALU_DEP_2) | instskip(SKIP_1) | instid1(VALU_DEP_2)
	v_fma_f32 v2, -v2, v82, v5
	s_wait_alu 0xfffd
	v_div_fmas_f32 v3, v0, v3, v6
	s_mov_b32 vcc_lo, s0
	v_div_scale_f32 v84, s0, 0xce7434c4, v81, 0xce7434c4
	s_wait_alu 0xfffe
	v_div_fmas_f32 v0, v2, v4, v82
	v_div_scale_f32 v4, null, v81, v81, 0xce7434c4
	v_div_fixup_f32 v3, v3, v81, 0x3f490fdb
	s_delay_alu instid0(VALU_DEP_3) | instskip(NEXT) | instid1(VALU_DEP_3)
	v_div_fixup_f32 v0, v0, v81, 0xca194e71
	v_rcp_f32_e32 v82, v4
	s_delay_alu instid0(VALU_DEP_2) | instskip(NEXT) | instid1(TRANS32_DEP_1)
	v_mul_f32_e32 v135, 0x4f800000, v3
	v_fma_f32 v87, -v4, v82, 1.0
	s_delay_alu instid0(VALU_DEP_1) | instskip(NEXT) | instid1(VALU_DEP_1)
	v_fmac_f32_e32 v82, v87, v82
	v_mul_f32_e32 v87, v84, v82
	s_delay_alu instid0(VALU_DEP_1) | instskip(NEXT) | instid1(VALU_DEP_1)
	v_fma_f32 v99, -v4, v87, v84
	v_dual_add_f32 v2, 0xbe14ca72, v81 :: v_dual_fmac_f32 v87, v99, v82
	s_delay_alu instid0(VALU_DEP_1) | instskip(SKIP_1) | instid1(VALU_DEP_3)
	v_div_scale_f32 v6, null, v2, v2, 0x3e14ca72
	v_div_scale_f32 v85, s1, 0x3e14ca72, v2, 0x3e14ca72
	v_fma_f32 v4, -v4, v87, v84
	s_delay_alu instid0(VALU_DEP_3) | instskip(NEXT) | instid1(TRANS32_DEP_1)
	v_rcp_f32_e32 v83, v6
	v_fma_f32 v96, -v6, v83, 1.0
	s_delay_alu instid0(VALU_DEP_1) | instskip(NEXT) | instid1(VALU_DEP_1)
	v_dual_add_f32 v0, 0x495520f6, v0 :: v_dual_fmac_f32 v83, v96, v83
	v_div_scale_f32 v5, null, v81, v81, v0
	v_div_scale_f32 v97, vcc_lo, v0, v81, v0
	s_delay_alu instid0(VALU_DEP_3) | instskip(NEXT) | instid1(VALU_DEP_3)
	v_mul_f32_e32 v96, v85, v83
	v_rcp_f32_e32 v7, v5
	s_delay_alu instid0(VALU_DEP_1) | instskip(NEXT) | instid1(VALU_DEP_1)
	v_fma_f32 v100, -v6, v96, v85
	v_fmac_f32_e32 v96, v100, v83
	s_delay_alu instid0(TRANS32_DEP_1) | instskip(NEXT) | instid1(VALU_DEP_2)
	v_fma_f32 v86, -v5, v7, 1.0
	v_fma_f32 v84, -v6, v96, v85
	s_delay_alu instid0(VALU_DEP_2) | instskip(NEXT) | instid1(VALU_DEP_1)
	v_fmac_f32_e32 v7, v86, v7
	v_mul_f32_e32 v86, v97, v7
	s_delay_alu instid0(VALU_DEP_1) | instskip(NEXT) | instid1(VALU_DEP_1)
	v_fma_f32 v98, -v5, v86, v97
	v_fmac_f32_e32 v86, v98, v7
	s_delay_alu instid0(VALU_DEP_1) | instskip(SKIP_1) | instid1(VALU_DEP_1)
	v_fma_f32 v5, -v5, v86, v97
	s_wait_alu 0xfffd
	v_div_fmas_f32 v6, v5, v7, v86
	s_mov_b32 vcc_lo, s1
	s_wait_alu 0xfffe
	v_div_fmas_f32 v5, v84, v83, v96
	s_mov_b32 vcc_lo, s0
	v_div_scale_f32 v96, s0, 0xcf2bbe86, v81, 0xcf2bbe86
	s_wait_alu 0xfffe
	v_div_fmas_f32 v4, v4, v82, v87
	v_div_fixup_f32 v6, v6, v81, v0
	s_delay_alu instid0(VALU_DEP_2) | instskip(NEXT) | instid1(VALU_DEP_1)
	v_div_fixup_f32 v4, v4, v81, 0xce7434c4
	v_add_f32_e32 v4, 0x4db07acc, v4
	s_delay_alu instid0(VALU_DEP_1) | instskip(SKIP_1) | instid1(VALU_DEP_2)
	v_div_scale_f32 v7, null, v81, v81, v4
	v_div_scale_f32 v84, vcc_lo, v4, v81, v4
	v_rcp_f32_e32 v82, v7
	s_delay_alu instid0(TRANS32_DEP_1) | instskip(NEXT) | instid1(VALU_DEP_1)
	v_fma_f32 v83, -v7, v82, 1.0
	v_fmac_f32_e32 v82, v83, v82
	s_delay_alu instid0(VALU_DEP_1) | instskip(NEXT) | instid1(VALU_DEP_1)
	v_mul_f32_e32 v83, v84, v82
	v_fma_f32 v85, -v7, v83, v84
	s_delay_alu instid0(VALU_DEP_1) | instskip(NEXT) | instid1(VALU_DEP_1)
	v_fmac_f32_e32 v83, v85, v82
	v_fma_f32 v7, -v7, v83, v84
	s_wait_alu 0xfffd
	s_delay_alu instid0(VALU_DEP_1) | instskip(SKIP_1) | instid1(VALU_DEP_2)
	v_div_fmas_f32 v7, v7, v82, v83
	v_div_scale_f32 v82, null, v81, v81, 0xcf2bbe86
	v_div_fixup_f32 v4, v7, v81, v4
	s_delay_alu instid0(VALU_DEP_2) | instskip(NEXT) | instid1(VALU_DEP_1)
	v_rcp_f32_e32 v86, v82
	v_add_f32_e32 v7, 0xcc5ff7d7, v4
	s_delay_alu instid0(VALU_DEP_1) | instskip(NEXT) | instid1(TRANS32_DEP_1)
	v_div_scale_f32 v83, null, v81, v81, v7
	v_fma_f32 v99, -v82, v86, 1.0
	v_div_scale_f32 v101, vcc_lo, v7, v81, v7
	s_delay_alu instid0(VALU_DEP_3) | instskip(NEXT) | instid1(VALU_DEP_2)
	v_rcp_f32_e32 v85, v83
	v_fmac_f32_e32 v86, v99, v86
	s_delay_alu instid0(VALU_DEP_1) | instskip(NEXT) | instid1(VALU_DEP_1)
	v_dual_add_f32 v4, 0xbfab678a, v81 :: v_dual_mul_f32 v99, v96, v86
	v_div_scale_f32 v84, null, v4, v4, 0x3fab678a
	s_delay_alu instid0(TRANS32_DEP_1) | instskip(SKIP_1) | instid1(VALU_DEP_3)
	v_fma_f32 v98, -v83, v85, 1.0
	v_div_scale_f32 v97, s1, 0x3fab678a, v4, 0x3fab678a
	v_rcp_f32_e32 v87, v84
	v_fma_f32 v103, -v82, v99, v96
	s_delay_alu instid0(VALU_DEP_3) | instskip(NEXT) | instid1(VALU_DEP_1)
	v_fmac_f32_e32 v85, v98, v85
	v_dual_fmac_f32 v99, v103, v86 :: v_dual_mul_f32 v98, v101, v85
	s_delay_alu instid0(TRANS32_DEP_1) | instskip(NEXT) | instid1(VALU_DEP_2)
	v_fma_f32 v100, -v84, v87, 1.0
	v_fma_f32 v96, -v82, v99, v96
	s_delay_alu instid0(VALU_DEP_3) | instskip(NEXT) | instid1(VALU_DEP_1)
	v_fma_f32 v102, -v83, v98, v101
	v_dual_fmac_f32 v87, v100, v87 :: v_dual_fmac_f32 v98, v102, v85
	s_delay_alu instid0(VALU_DEP_1) | instskip(NEXT) | instid1(VALU_DEP_2)
	v_mul_f32_e32 v100, v97, v87
	v_fma_f32 v83, -v83, v98, v101
	s_delay_alu instid0(VALU_DEP_2) | instskip(SKIP_1) | instid1(VALU_DEP_2)
	v_fma_f32 v112, -v84, v100, v97
	s_wait_alu 0xfffd
	v_div_fmas_f32 v83, v83, v85, v98
	s_mov_b32 vcc_lo, s1
	s_delay_alu instid0(VALU_DEP_2) | instskip(NEXT) | instid1(VALU_DEP_2)
	v_fmac_f32_e32 v100, v112, v87
	v_div_fixup_f32 v83, v83, v81, v7
	s_delay_alu instid0(VALU_DEP_2) | instskip(SKIP_1) | instid1(VALU_DEP_1)
	v_fma_f32 v82, -v84, v100, v97
	s_wait_alu 0xfffe
	v_div_fmas_f32 v82, v82, v87, v100
	s_mov_b32 vcc_lo, s0
	v_div_scale_f32 v100, s0, 0x4c0527dc, v81, 0x4c0527dc
	s_wait_alu 0xfffe
	v_div_fmas_f32 v84, v96, v86, v99
	s_delay_alu instid0(VALU_DEP_1) | instskip(NEXT) | instid1(VALU_DEP_1)
	v_div_fixup_f32 v84, v84, v81, 0xcf2bbe86
	v_add_f32_e32 v84, 0x4e7e374b, v84
	s_delay_alu instid0(VALU_DEP_1) | instskip(SKIP_1) | instid1(VALU_DEP_2)
	v_div_scale_f32 v85, null, v81, v81, v84
	v_div_scale_f32 v96, vcc_lo, v84, v81, v84
	v_rcp_f32_e32 v86, v85
	s_delay_alu instid0(TRANS32_DEP_1) | instskip(NEXT) | instid1(VALU_DEP_1)
	v_fma_f32 v87, -v85, v86, 1.0
	v_fmac_f32_e32 v86, v87, v86
	s_delay_alu instid0(VALU_DEP_1) | instskip(NEXT) | instid1(VALU_DEP_1)
	v_mul_f32_e32 v87, v96, v86
	v_fma_f32 v97, -v85, v87, v96
	s_delay_alu instid0(VALU_DEP_1) | instskip(NEXT) | instid1(VALU_DEP_1)
	v_fmac_f32_e32 v87, v97, v86
	v_fma_f32 v85, -v85, v87, v96
	s_wait_alu 0xfffd
	s_delay_alu instid0(VALU_DEP_1) | instskip(SKIP_1) | instid1(VALU_DEP_1)
	v_div_fmas_f32 v85, v85, v86, v87
	v_div_scale_f32 v86, null, v81, v81, 0x4c0527dc
	v_rcp_f32_e32 v98, v86
	s_delay_alu instid0(TRANS32_DEP_1) | instskip(NEXT) | instid1(VALU_DEP_1)
	v_fma_f32 v103, -v86, v98, 1.0
	v_fmac_f32_e32 v98, v103, v98
	s_delay_alu instid0(VALU_DEP_1) | instskip(SKIP_2) | instid1(VALU_DEP_3)
	v_mul_f32_e32 v103, v100, v98
	v_div_fixup_f32 v84, v85, v81, v84
	v_add_f32_e32 v85, 0xc07b535f, v81
	v_fma_f32 v115, -v86, v103, v100
	s_delay_alu instid0(VALU_DEP_3) | instskip(NEXT) | instid1(VALU_DEP_3)
	v_add_f32_e32 v84, 0xcd2479c9, v84
	v_div_scale_f32 v96, null, v85, v85, 0x407b535f
	v_div_scale_f32 v101, s1, 0x407b535f, v85, 0x407b535f
	s_delay_alu instid0(VALU_DEP_3) | instskip(NEXT) | instid1(VALU_DEP_3)
	v_div_scale_f32 v87, null, v81, v81, v84
	v_rcp_f32_e32 v99, v96
	v_div_scale_f32 v113, vcc_lo, v84, v81, v84
	s_delay_alu instid0(VALU_DEP_2) | instskip(SKIP_1) | instid1(VALU_DEP_1)
	v_rcp_f32_e32 v97, v87
	v_fmac_f32_e32 v103, v115, v98
	v_fma_f32 v86, -v86, v103, v100
	s_delay_alu instid0(TRANS32_DEP_2) | instskip(NEXT) | instid1(TRANS32_DEP_1)
	v_fma_f32 v112, -v96, v99, 1.0
	v_fma_f32 v102, -v87, v97, 1.0
	s_delay_alu instid0(VALU_DEP_2) | instskip(NEXT) | instid1(VALU_DEP_1)
	v_fmac_f32_e32 v99, v112, v99
	v_dual_fmac_f32 v97, v102, v97 :: v_dual_mul_f32 v112, v101, v99
	s_delay_alu instid0(VALU_DEP_1) | instskip(NEXT) | instid1(VALU_DEP_2)
	v_mul_f32_e32 v102, v113, v97
	v_fma_f32 v116, -v96, v112, v101
	s_delay_alu instid0(VALU_DEP_2) | instskip(NEXT) | instid1(VALU_DEP_2)
	v_fma_f32 v114, -v87, v102, v113
	v_fmac_f32_e32 v112, v116, v99
	s_delay_alu instid0(VALU_DEP_2) | instskip(NEXT) | instid1(VALU_DEP_2)
	v_fmac_f32_e32 v102, v114, v97
	v_fma_f32 v96, -v96, v112, v101
	s_delay_alu instid0(VALU_DEP_2) | instskip(SKIP_1) | instid1(VALU_DEP_1)
	v_fma_f32 v87, -v87, v102, v113
	s_wait_alu 0xfffd
	v_div_fmas_f32 v87, v87, v97, v102
	s_mov_b32 vcc_lo, s1
	v_add_f32_e32 v97, 0xc1096b0d, v81
	s_wait_alu 0xfffe
	v_div_fmas_f32 v96, v96, v99, v112
	s_mov_b32 vcc_lo, s0
	v_div_scale_f32 v112, s0, 0x4c46ea5e, v81, 0x4c46ea5e
	s_wait_alu 0xfffe
	v_div_fmas_f32 v86, v86, v98, v103
	v_div_scale_f32 v100, null, v97, v97, 0x41096b0d
	v_div_scale_f32 v98, null, v81, v81, 0x4c46ea5e
	s_delay_alu instid0(VALU_DEP_3) | instskip(NEXT) | instid1(VALU_DEP_3)
	v_div_fixup_f32 v86, v86, v81, 0x4c0527dc
	v_rcp_f32_e32 v103, v100
	v_div_scale_f32 v113, s1, 0x41096b0d, v97, 0x41096b0d
	s_delay_alu instid0(VALU_DEP_3) | instskip(NEXT) | instid1(VALU_DEP_2)
	v_rcp_f32_e32 v102, v98
	v_add_f32_e32 v86, 0xcb7baf74, v86
	s_delay_alu instid0(VALU_DEP_1) | instskip(SKIP_1) | instid1(TRANS32_DEP_2)
	v_div_scale_f32 v99, null, v81, v81, v86
	v_div_scale_f32 v117, vcc_lo, v86, v81, v86
	v_fma_f32 v116, -v100, v103, 1.0
	s_delay_alu instid0(VALU_DEP_3) | instskip(NEXT) | instid1(TRANS32_DEP_2)
	v_rcp_f32_e32 v101, v99
	v_fma_f32 v115, -v98, v102, 1.0
	s_delay_alu instid0(VALU_DEP_1) | instskip(NEXT) | instid1(TRANS32_DEP_1)
	v_dual_fmac_f32 v103, v116, v103 :: v_dual_fmac_f32 v102, v115, v102
	v_fma_f32 v114, -v99, v101, 1.0
	s_delay_alu instid0(VALU_DEP_2) | instskip(SKIP_1) | instid1(VALU_DEP_3)
	v_mul_f32_e32 v115, v112, v102
	v_div_fixup_f32 v84, v87, v81, v84
	v_fmac_f32_e32 v101, v114, v101
	s_delay_alu instid0(VALU_DEP_3) | instskip(NEXT) | instid1(VALU_DEP_1)
	v_fma_f32 v119, -v98, v115, v112
	v_dual_mul_f32 v114, v117, v101 :: v_dual_fmac_f32 v115, v119, v102
	v_fmaak_f32 v119, s13, v81, 0x41934c39
	s_delay_alu instid0(VALU_DEP_2) | instskip(NEXT) | instid1(VALU_DEP_3)
	v_fma_f32 v118, -v99, v114, v117
	v_fma_f32 v98, -v98, v115, v112
	s_delay_alu instid0(VALU_DEP_2) | instskip(NEXT) | instid1(VALU_DEP_1)
	v_fmac_f32_e32 v114, v118, v101
	v_fma_f32 v99, -v99, v114, v117
	s_wait_alu 0xfffd
	s_delay_alu instid0(VALU_DEP_1) | instskip(SKIP_3) | instid1(VALU_DEP_1)
	v_div_fmas_f32 v99, v99, v101, v114
	s_mov_b32 vcc_lo, s1
	s_mov_b32 s1, 0xb83af1e6
	v_mul_f32_e32 v116, v113, v103
	v_fma_f32 v128, -v100, v116, v113
	s_delay_alu instid0(VALU_DEP_1) | instskip(NEXT) | instid1(VALU_DEP_1)
	v_fmac_f32_e32 v116, v128, v103
	v_fma_f32 v100, -v100, v116, v113
	s_wait_alu 0xfffe
	s_delay_alu instid0(VALU_DEP_1) | instskip(SKIP_3) | instid1(VALU_DEP_1)
	v_div_fmas_f32 v100, v100, v103, v116
	s_mov_b32 vcc_lo, s0
	s_wait_alu 0xfffe
	v_div_fmas_f32 v98, v98, v102, v115
	v_div_fixup_f32 v98, v98, v81, 0x4c46ea5e
	s_delay_alu instid0(VALU_DEP_1) | instskip(NEXT) | instid1(VALU_DEP_1)
	v_add_f32_e32 v98, 0xcb4ca412, v98
	v_div_scale_f32 v101, null, v81, v81, v98
	v_div_scale_f32 v112, vcc_lo, v98, v81, v98
	s_delay_alu instid0(VALU_DEP_2) | instskip(NEXT) | instid1(TRANS32_DEP_1)
	v_rcp_f32_e32 v102, v101
	v_fma_f32 v103, -v101, v102, 1.0
	s_delay_alu instid0(VALU_DEP_1) | instskip(NEXT) | instid1(VALU_DEP_1)
	v_fmac_f32_e32 v102, v103, v102
	v_mul_f32_e32 v103, v112, v102
	s_delay_alu instid0(VALU_DEP_1) | instskip(NEXT) | instid1(VALU_DEP_1)
	v_fma_f32 v113, -v101, v103, v112
	v_fmac_f32_e32 v103, v113, v102
	s_delay_alu instid0(VALU_DEP_1) | instskip(SKIP_1) | instid1(VALU_DEP_1)
	v_fma_f32 v101, -v101, v103, v112
	s_wait_alu 0xfffd
	v_div_fmas_f32 v101, v101, v102, v103
	v_div_scale_f32 v102, null, v81, v81, 0x4b6c15fd
	s_delay_alu instid0(VALU_DEP_2) | instskip(NEXT) | instid1(VALU_DEP_2)
	v_div_fixup_f32 v98, v101, v81, v98
	v_rcp_f32_e32 v112, v102
	s_delay_alu instid0(VALU_DEP_1) | instskip(NEXT) | instid1(VALU_DEP_1)
	v_add_f32_e32 v98, 0x498ac2e8, v98
	v_div_scale_f32 v101, null, v81, v81, v98
	s_delay_alu instid0(TRANS32_DEP_1) | instskip(SKIP_1) | instid1(VALU_DEP_3)
	v_fma_f32 v114, -v102, v112, 1.0
	v_div_scale_f32 v115, vcc_lo, v98, v81, v98
	v_rcp_f32_e32 v103, v101
	s_delay_alu instid0(VALU_DEP_2) | instskip(NEXT) | instid1(TRANS32_DEP_1)
	v_fmac_f32_e32 v112, v114, v112
	v_fma_f32 v113, -v101, v103, 1.0
	s_delay_alu instid0(VALU_DEP_1) | instskip(SKIP_1) | instid1(VALU_DEP_2)
	v_fmac_f32_e32 v103, v113, v103
	v_div_scale_f32 v113, s0, 0x4b6c15fd, v81, 0x4b6c15fd
	v_mul_f32_e32 v114, v115, v103
	s_delay_alu instid0(VALU_DEP_1) | instskip(NEXT) | instid1(VALU_DEP_1)
	v_fma_f32 v117, -v101, v114, v115
	v_dual_fmac_f32 v114, v117, v103 :: v_dual_fmaak_f32 v117, s1, v81, 0x3aa6cffa
	v_cmp_gt_f32_e64 s1, 0xf800000, v3
	s_delay_alu instid0(VALU_DEP_2) | instskip(NEXT) | instid1(VALU_DEP_3)
	v_fma_f32 v101, -v101, v114, v115
	v_fmaak_f32 v117, v81, v117, 0xbe72a452
	s_wait_alu 0xf1ff
	s_delay_alu instid0(VALU_DEP_3) | instskip(SKIP_3) | instid1(VALU_DEP_2)
	v_cndmask_b32_e64 v3, v3, v135, s1
	s_wait_alu 0xfffd
	v_div_fmas_f32 v101, v101, v103, v114
	s_mov_b32 vcc_lo, s0
	v_sqrt_f32_e32 v135, v3
	v_dual_mul_f32 v116, v113, v112 :: v_dual_mul_f32 v103, 0xbfb8aa3b, v81
	s_delay_alu instid0(VALU_DEP_1) | instskip(NEXT) | instid1(VALU_DEP_1)
	v_fma_f32 v118, -v102, v116, v113
	v_fmac_f32_e32 v116, v118, v112
	s_delay_alu instid0(VALU_DEP_1) | instskip(SKIP_2) | instid1(VALU_DEP_2)
	v_fma_f32 v102, -v102, v116, v113
	v_div_scale_f32 v113, null, v81, v81, 0x3e48f136
	s_wait_alu 0xfffe
	v_div_fmas_f32 v102, v102, v112, v116
	s_delay_alu instid0(VALU_DEP_2) | instskip(SKIP_1) | instid1(VALU_DEP_2)
	v_rcp_f32_e32 v115, v113
	v_div_scale_f32 v116, s0, 0x3e48f136, v81, 0x3e48f136
	v_div_fixup_f32 v102, v102, v81, 0x4b6c15fd
	s_delay_alu instid0(VALU_DEP_1) | instskip(NEXT) | instid1(TRANS32_DEP_1)
	v_add_f32_e32 v102, 0xcaa08b90, v102
	v_fma_f32 v131, -v113, v115, 1.0
	s_delay_alu instid0(VALU_DEP_2) | instskip(SKIP_1) | instid1(VALU_DEP_3)
	v_div_scale_f32 v112, null, v81, v81, v102
	v_div_scale_f32 v132, vcc_lo, v102, v81, v102
	v_fmac_f32_e32 v115, v131, v115
	s_delay_alu instid0(VALU_DEP_3) | instskip(SKIP_1) | instid1(VALU_DEP_1)
	v_rcp_f32_e32 v114, v112
	v_fma_f32 v131, 0xbfb8aa3b, v81, -v103
	v_dual_mul_f32 v134, v116, v115 :: v_dual_fmamk_f32 v131, v81, 0xb2a5705f, v131
	s_delay_alu instid0(VALU_DEP_1) | instskip(NEXT) | instid1(TRANS32_DEP_1)
	v_fma_f32 v145, -v113, v134, v116
	v_fma_f32 v129, -v112, v114, 1.0
	s_delay_alu instid0(VALU_DEP_2) | instskip(NEXT) | instid1(VALU_DEP_2)
	v_fmac_f32_e32 v134, v145, v115
	v_fmac_f32_e32 v114, v129, v114
	v_rndne_f32_e32 v129, v103
	s_delay_alu instid0(VALU_DEP_3) | instskip(NEXT) | instid1(VALU_DEP_3)
	v_fma_f32 v113, -v113, v134, v116
	v_mul_f32_e32 v133, v132, v114
	s_delay_alu instid0(VALU_DEP_3) | instskip(SKIP_2) | instid1(VALU_DEP_4)
	v_sub_f32_e32 v103, v103, v129
	v_dual_fmaak_f32 v116, v81, v117, 0x4176edd6 :: v_dual_add_nc_u32 v117, 1, v135
	v_div_fixup_f32 v86, v99, v81, v86
	v_fma_f32 v144, -v112, v133, v132
	s_delay_alu instid0(VALU_DEP_4) | instskip(NEXT) | instid1(VALU_DEP_4)
	v_add_f32_e32 v103, v103, v131
	v_fma_f32 v131, -v117, v135, v3
	s_delay_alu instid0(VALU_DEP_3) | instskip(NEXT) | instid1(VALU_DEP_3)
	v_fmac_f32_e32 v133, v144, v114
	v_exp_f32_e32 v103, v103
	s_delay_alu instid0(VALU_DEP_1) | instskip(SKIP_1) | instid1(VALU_DEP_1)
	v_fma_f32 v112, -v112, v133, v132
	s_wait_alu 0xfffd
	v_div_fmas_f32 v112, v112, v114, v133
	s_mov_b32 vcc_lo, s0
	v_cvt_i32_f32_e32 v114, v129
	s_wait_alu 0xfffe
	v_div_fmas_f32 v113, v113, v115, v134
	v_add_nc_u32_e32 v115, -1, v135
	s_mov_b32 s0, 0xba1d77bb
	v_div_fixup_f32 v98, v101, v81, v98
	v_ldexp_f32 v103, v103, v114
	v_div_fixup_f32 v113, v113, v81, 0x3e48f136
	v_fma_f32 v129, -v115, v135, v3
	s_delay_alu instid0(VALU_DEP_2) | instskip(NEXT) | instid1(VALU_DEP_2)
	v_add_f32_e32 v113, 0xbefe708c, v113
	v_cmp_ge_f32_e32 vcc_lo, 0, v129
	s_delay_alu instid0(VALU_DEP_2) | instskip(SKIP_4) | instid1(VALU_DEP_2)
	v_div_scale_f32 v129, null, v81, v81, v113
	s_wait_alu 0xfffd
	v_cndmask_b32_e32 v115, v135, v115, vcc_lo
	v_cmp_lt_f32_e32 vcc_lo, 0, v131
	s_wait_alu 0xfffd
	v_cndmask_b32_e32 v114, v115, v117, vcc_lo
	v_cmp_nlt_f32_e32 vcc_lo, 0x42ce8ed0, v81
	s_delay_alu instid0(VALU_DEP_2)
	v_mul_f32_e32 v117, 0x37800000, v114
	s_wait_alu 0xfffd
	v_cndmask_b32_e32 v103, 0, v103, vcc_lo
	v_cmp_ngt_f32_e32 vcc_lo, 0xc2b17218, v81
	v_div_fixup_f32 v101, v112, v81, v102
	v_cndmask_b32_e64 v0, v114, v117, s1
	s_wait_alu 0xfffe
	v_fmaak_f32 v117, s0, v81, 0xbeba9d10
	s_wait_alu 0xfffd
	v_cndmask_b32_e32 v103, 0x7f800000, v103, vcc_lo
	v_cmp_class_f32_e64 vcc_lo, v3, 0x260
	s_delay_alu instid0(VALU_DEP_2) | instskip(SKIP_4) | instid1(VALU_DEP_3)
	v_mul_f32_e32 v1, v103, v1
	s_wait_alu 0xfffd
	v_dual_cndmask_b32 v3, v0, v3 :: v_dual_fmaak_f32 v116, v81, v116, 0xc402b325
	v_div_fixup_f32 v0, v5, v2, 0x3e14ca72
	v_div_scale_f32 v2, vcc_lo, v113, v81, v113
	v_fmaak_f32 v115, v81, v116, 0x46258c7d
	v_rcp_f32_e32 v116, v129
	s_delay_alu instid0(VALU_DEP_1) | instskip(NEXT) | instid1(TRANS32_DEP_1)
	v_fmac_f32_e32 v6, v81, v115
	v_fma_f32 v7, -v129, v116, 1.0
	s_delay_alu instid0(VALU_DEP_1) | instskip(NEXT) | instid1(VALU_DEP_1)
	v_fmac_f32_e32 v116, v7, v116
	v_dual_fmaak_f32 v118, s3, v81, 0x40cb68be :: v_dual_mul_f32 v115, v2, v116
	s_delay_alu instid0(VALU_DEP_1) | instskip(NEXT) | instid1(VALU_DEP_1)
	v_fmaak_f32 v118, v81, v118, 0xc3a92602
	v_fmaak_f32 v118, v81, v118, 0x46438033
	s_delay_alu instid0(VALU_DEP_1) | instskip(NEXT) | instid1(VALU_DEP_1)
	v_fmaak_f32 v118, v81, v118, 0xc89ab5f2
	v_dual_fmaak_f32 v128, s14, v81, 0xbc1634c4 :: v_dual_fmac_f32 v83, v81, v118
	v_fma_f32 v118, -v129, v115, v2
	v_fmaak_f32 v130, s15, v81, 0xbd10f50f
	s_delay_alu instid0(VALU_DEP_3) | instskip(NEXT) | instid1(VALU_DEP_4)
	v_fmaak_f32 v128, v81, v128, 0x3eeca3b6
	v_add_f32_e32 v83, 0x4aa45f3c, v83
	s_delay_alu instid0(VALU_DEP_4) | instskip(NEXT) | instid1(VALU_DEP_4)
	v_fmac_f32_e32 v115, v118, v116
	v_fmaak_f32 v5, v81, v130, 0x4004fd88
	s_delay_alu instid0(VALU_DEP_4) | instskip(NEXT) | instid1(VALU_DEP_3)
	v_fmaak_f32 v7, v81, v128, 0xc19d8e16
	v_fma_f32 v2, -v129, v115, v2
	s_delay_alu instid0(VALU_DEP_3) | instskip(NEXT) | instid1(VALU_DEP_3)
	v_fmaak_f32 v5, v81, v5, 0xc2c8edee
	v_fmaak_f32 v7, v81, v7, 0x43f995a8
	s_wait_alu 0xfffd
	s_delay_alu instid0(VALU_DEP_3) | instskip(NEXT) | instid1(VALU_DEP_3)
	v_div_fmas_f32 v2, v2, v116, v115
	v_fmaak_f32 v5, v81, v5, 0x454500fa
	s_delay_alu instid0(VALU_DEP_3) | instskip(NEXT) | instid1(VALU_DEP_3)
	v_fmaak_f32 v7, v81, v7, 0xc5c23196
	v_div_fixup_f32 v2, v2, v81, v113
	s_delay_alu instid0(VALU_DEP_3) | instskip(SKIP_2) | instid1(VALU_DEP_3)
	v_fmaak_f32 v5, v81, v5, 0xc774f179
	v_add_f32_e32 v114, 0xc7fc5531, v6
	v_fmaak_f32 v6, v81, v119, 0xc47a8078
	v_dual_add_f32 v2, 0xb87c50a3, v2 :: v_dual_fmac_f32 v101, v81, v5
	s_delay_alu instid0(VALU_DEP_3) | instskip(NEXT) | instid1(VALU_DEP_3)
	v_dual_fmaak_f32 v117, v81, v117, 0x417bfe6a :: v_dual_fmac_f32 v0, v103, v114
	v_fmaak_f32 v6, v81, v6, 0x47128b2f
	s_delay_alu instid0(VALU_DEP_3) | instskip(NEXT) | instid1(VALU_DEP_2)
	v_dual_fmac_f32 v98, v81, v7 :: v_dual_add_f32 v7, 0x493b49f6, v101
	v_fmaak_f32 v102, v81, v6, 0xc968162b
	s_delay_alu instid0(VALU_DEP_4) | instskip(NEXT) | instid1(VALU_DEP_2)
	v_fmaak_f32 v6, v81, v117, 0xc423bc6f
	v_fmac_f32_e32 v84, v81, v102
	s_delay_alu instid0(VALU_DEP_2)
	v_fmaak_f32 v5, v81, v6, 0x46857602
	v_add_f32_e32 v6, 0xc52ff030, v98
	v_mul_f32_e32 v98, v103, v7
	v_fmamk_f32 v7, v3, 0x396c2b78, v1
	v_div_fixup_f32 v1, v82, v4, 0x3fab678a
	v_fmaak_f32 v87, v81, v5, 0xc88ddabe
	v_mul_f32_e32 v5, v103, v6
	s_delay_alu instid0(VALU_DEP_3) | instskip(NEXT) | instid1(VALU_DEP_3)
	v_fmac_f32_e32 v1, v103, v83
	v_dual_fmac_f32 v86, v81, v87 :: v_dual_add_f32 v81, 0x4b74c7d3, v84
	s_delay_alu instid0(VALU_DEP_3) | instskip(SKIP_4) | instid1(VALU_DEP_3)
	v_fmamk_f32 v6, v3, 0x3c9ddd0b, v5
	v_fmamk_f32 v5, v3, 0x3e701b7a, v98
	v_fmac_f32_e32 v3, v103, v2
	v_div_fixup_f32 v2, v96, v85, 0x407b535f
	v_add_f32_e32 v82, 0x4a3529ce, v86
	v_sub_f32_e32 v4, v3, v5
	v_div_fixup_f32 v3, v100, v97, 0x41096b0d
	s_delay_alu instid0(VALU_DEP_4) | instskip(NEXT) | instid1(VALU_DEP_3)
	v_fmac_f32_e32 v2, v103, v81
                                        ; implicit-def: $vgpr81
	v_sub_f32_e32 v4, v4, v6
	s_delay_alu instid0(VALU_DEP_1)
	v_dual_fmac_f32 v3, v103, v82 :: v_dual_sub_f32 v4, v4, v7
.LBB0_67:
	s_wait_alu 0xfffe
	s_and_not1_saveexec_b32 s13, s2
	s_cbranch_execz .LBB0_73
; %bb.68:
	v_div_scale_f32 v0, null, v81, v81, 0x3f490fdb
	v_div_scale_f32 v3, vcc_lo, 0x3f490fdb, v81, 0x3f490fdb
	v_add_f32_e32 v85, 0xc1096b0d, v81
	s_delay_alu instid0(VALU_DEP_3) | instskip(SKIP_4) | instid1(TRANS32_DEP_1)
	v_rcp_f32_e32 v1, v0
	v_add_f32_e32 v86, 0xc07b535f, v81
	v_add_f32_e32 v83, 0xbfab678a, v81
	v_add_f32_e32 v84, 0xbe14ca72, v81
	s_mov_b32 s1, exec_lo
	v_fma_f32 v2, -v0, v1, 1.0
	s_delay_alu instid0(VALU_DEP_1) | instskip(NEXT) | instid1(VALU_DEP_1)
	v_fmac_f32_e32 v1, v2, v1
	v_mul_f32_e32 v2, v3, v1
	s_delay_alu instid0(VALU_DEP_1) | instskip(NEXT) | instid1(VALU_DEP_1)
	v_fma_f32 v4, -v0, v2, v3
	v_fmac_f32_e32 v2, v4, v1
	s_delay_alu instid0(VALU_DEP_1) | instskip(SKIP_1) | instid1(VALU_DEP_1)
	v_fma_f32 v0, -v0, v2, v3
	s_wait_alu 0xfffd
	v_div_fmas_f32 v0, v0, v1, v2
	s_delay_alu instid0(VALU_DEP_1) | instskip(NEXT) | instid1(VALU_DEP_1)
	v_div_fixup_f32 v0, v0, v81, 0x3f490fdb
	v_mul_f32_e32 v1, 0x4f800000, v0
	v_cmp_gt_f32_e32 vcc_lo, 0xf800000, v0
	s_wait_alu 0xfffd
	s_delay_alu instid0(VALU_DEP_2) | instskip(NEXT) | instid1(VALU_DEP_1)
	v_cndmask_b32_e32 v0, v0, v1, vcc_lo
	v_sqrt_f32_e32 v1, v0
	s_delay_alu instid0(TRANS32_DEP_1) | instskip(SKIP_1) | instid1(VALU_DEP_2)
	v_add_nc_u32_e32 v2, -1, v1
	v_add_nc_u32_e32 v3, 1, v1
	v_fma_f32 v4, -v2, v1, v0
	s_delay_alu instid0(VALU_DEP_2) | instskip(NEXT) | instid1(VALU_DEP_2)
	v_fma_f32 v5, -v3, v1, v0
	v_cmp_ge_f32_e64 s0, 0, v4
	s_wait_alu 0xf1ff
	s_delay_alu instid0(VALU_DEP_1) | instskip(NEXT) | instid1(VALU_DEP_3)
	v_cndmask_b32_e64 v1, v1, v2, s0
	v_cmp_lt_f32_e64 s0, 0, v5
                                        ; implicit-def: $vgpr7
	s_wait_alu 0xf1ff
	s_delay_alu instid0(VALU_DEP_1) | instskip(NEXT) | instid1(VALU_DEP_1)
	v_cndmask_b32_e64 v1, v1, v3, s0
	v_mul_f32_e32 v2, 0x37800000, v1
	s_delay_alu instid0(VALU_DEP_1) | instskip(SKIP_2) | instid1(VALU_DEP_2)
	v_cndmask_b32_e32 v1, v1, v2, vcc_lo
	v_cmp_class_f32_e64 vcc_lo, v0, 0x260
	s_wait_alu 0xfffd
	v_cndmask_b32_e32 v82, v1, v0, vcc_lo
                                        ; implicit-def: $vgpr3
	v_cmpx_ge_f32_e32 0x42540000, v81
	s_wait_alu 0xfffe
	s_xor_b32 s14, exec_lo, s1
	s_cbranch_execz .LBB0_70
; %bb.69:
	v_frexp_mant_f32_e32 v0, v81
	s_mov_b32 s0, 0x3e76c4e1
	s_mov_b32 s3, 0xbb0f9cc4
	;; [unrolled: 1-line block ×4, first 2 shown]
	v_cmp_gt_f32_e32 vcc_lo, 0x3f2aaaab, v0
	s_mov_b32 s20, 0x3a219432
	s_mov_b32 s18, 0x36c17c4f
	;; [unrolled: 1-line block ×3, first 2 shown]
	s_wait_alu 0xfffe
	v_fmaak_f32 v103, s18, v81, 0xb8a5812b
	s_wait_alu 0xfffd
	v_cndmask_b32_e64 v1, 1.0, 2.0, vcc_lo
	v_div_scale_f32 v98, s1, 0x3fab678a, v83, 0x3fab678a
	s_mov_b32 s16, 0xb9be174b
	v_div_scale_f32 v99, s2, 0x3e14ca72, v84, 0x3e14ca72
	v_mul_f32_e32 v0, v0, v1
	v_fmaak_f32 v102, s17, v81, 0xba3493bb
	s_delay_alu instid0(VALU_DEP_2) | instskip(NEXT) | instid1(VALU_DEP_1)
	v_dual_fmaak_f32 v114, s20, v81, 0xbc4f9ac2 :: v_dual_add_f32 v3, -1.0, v0
	v_dual_add_f32 v1, 1.0, v0 :: v_dual_fmaak_f32 v114, v81, v114, 0x3da6cf84
	s_delay_alu instid0(VALU_DEP_1) | instskip(NEXT) | instid1(TRANS32_DEP_1)
	v_rcp_f32_e32 v2, v1
	v_dual_mul_f32 v4, v3, v2 :: v_dual_add_f32 v5, -1.0, v1
	s_delay_alu instid0(VALU_DEP_1) | instskip(NEXT) | instid1(VALU_DEP_2)
	v_mul_f32_e32 v6, v1, v4
	v_sub_f32_e32 v0, v0, v5
	s_delay_alu instid0(VALU_DEP_2) | instskip(NEXT) | instid1(VALU_DEP_1)
	v_fma_f32 v1, v4, v1, -v6
	v_fmac_f32_e32 v1, v4, v0
	s_delay_alu instid0(VALU_DEP_1) | instskip(NEXT) | instid1(VALU_DEP_1)
	v_add_f32_e32 v0, v6, v1
	v_dual_sub_f32 v5, v3, v0 :: v_dual_sub_f32 v6, v0, v6
	s_delay_alu instid0(VALU_DEP_1) | instskip(NEXT) | instid1(VALU_DEP_2)
	v_sub_f32_e32 v1, v6, v1
	v_sub_f32_e32 v3, v3, v5
	s_delay_alu instid0(VALU_DEP_1) | instskip(NEXT) | instid1(VALU_DEP_1)
	v_sub_f32_e32 v0, v3, v0
	v_add_f32_e32 v0, v1, v0
	s_delay_alu instid0(VALU_DEP_1) | instskip(NEXT) | instid1(VALU_DEP_1)
	v_add_f32_e32 v0, v5, v0
	v_mul_f32_e32 v0, v2, v0
	s_delay_alu instid0(VALU_DEP_1) | instskip(NEXT) | instid1(VALU_DEP_1)
	v_add_f32_e32 v2, v4, v0
	v_sub_f32_e32 v1, v2, v4
	v_mul_f32_e32 v3, v2, v2
	s_delay_alu instid0(VALU_DEP_1) | instskip(NEXT) | instid1(VALU_DEP_3)
	v_fma_f32 v5, v2, v2, -v3
	v_sub_f32_e32 v4, v0, v1
	s_delay_alu instid0(VALU_DEP_1) | instskip(NEXT) | instid1(VALU_DEP_1)
	v_add_f32_e32 v0, v4, v4
	v_fmac_f32_e32 v5, v2, v0
	v_cvt_f64_f32_e32 v[0:1], v81
	s_delay_alu instid0(VALU_DEP_2) | instskip(NEXT) | instid1(VALU_DEP_1)
	v_add_f32_e32 v6, v3, v5
	v_fmaak_f32 v7, s0, v6, 0x3e91f4c4
	v_sub_f32_e32 v3, v6, v3
	s_delay_alu instid0(VALU_DEP_2) | instskip(SKIP_1) | instid1(VALU_DEP_3)
	v_fmaak_f32 v7, v6, v7, 0x3ecccdef
	v_mul_f32_e32 v97, v2, v6
	v_sub_f32_e32 v3, v5, v3
	s_delay_alu instid0(VALU_DEP_3) | instskip(NEXT) | instid1(VALU_DEP_1)
	v_mul_f32_e32 v87, v6, v7
	v_fma_f32 v5, v6, v7, -v87
	v_frexp_exp_i32_f64_e32 v0, v[0:1]
	s_delay_alu instid0(VALU_DEP_1) | instskip(SKIP_1) | instid1(VALU_DEP_2)
	v_subrev_co_ci_u32_e64 v0, null, 0, v0, vcc_lo
	v_cmp_eq_f32_e32 vcc_lo, 1.0, v81
	v_cvt_f32_i32_e32 v0, v0
	v_fmac_f32_e32 v5, v3, v7
	s_delay_alu instid0(VALU_DEP_1) | instskip(NEXT) | instid1(VALU_DEP_1)
	v_add_f32_e32 v7, v87, v5
	v_sub_f32_e32 v87, v7, v87
	v_add_f32_e32 v96, 0x3f2aaaaa, v7
	s_delay_alu instid0(VALU_DEP_2) | instskip(NEXT) | instid1(VALU_DEP_2)
	v_sub_f32_e32 v1, v5, v87
	v_add_f32_e32 v5, 0xbf2aaaaa, v96
	v_fma_f32 v87, v6, v2, -v97
	s_delay_alu instid0(VALU_DEP_3) | instskip(NEXT) | instid1(VALU_DEP_3)
	v_add_f32_e32 v1, 0x31739010, v1
	v_sub_f32_e32 v5, v7, v5
	s_delay_alu instid0(VALU_DEP_3) | instskip(SKIP_1) | instid1(VALU_DEP_3)
	v_fmac_f32_e32 v87, v6, v4
	v_ldexp_f32 v4, v4, 1
	v_add_f32_e32 v1, v1, v5
	s_delay_alu instid0(VALU_DEP_3) | instskip(NEXT) | instid1(VALU_DEP_2)
	v_fmac_f32_e32 v87, v3, v2
	v_add_f32_e32 v3, v96, v1
	s_delay_alu instid0(VALU_DEP_2) | instskip(NEXT) | instid1(VALU_DEP_2)
	v_add_f32_e32 v5, v97, v87
	v_sub_f32_e32 v6, v96, v3
	s_delay_alu instid0(VALU_DEP_2) | instskip(SKIP_1) | instid1(VALU_DEP_3)
	v_mul_f32_e32 v7, v5, v3
	v_sub_f32_e32 v96, v5, v97
	v_add_f32_e32 v1, v1, v6
	s_delay_alu instid0(VALU_DEP_3) | instskip(NEXT) | instid1(VALU_DEP_3)
	v_fma_f32 v6, v5, v3, -v7
	v_sub_f32_e32 v87, v87, v96
	v_div_scale_f32 v96, null, v83, v83, 0x3fab678a
	s_delay_alu instid0(VALU_DEP_3) | instskip(SKIP_1) | instid1(VALU_DEP_3)
	v_fmac_f32_e32 v6, v5, v1
	v_ldexp_f32 v1, v2, 1
	v_rcp_f32_e32 v128, v96
	s_delay_alu instid0(VALU_DEP_2) | instskip(NEXT) | instid1(VALU_DEP_1)
	v_fmac_f32_e32 v6, v87, v3
	v_add_f32_e32 v2, v7, v6
	s_delay_alu instid0(TRANS32_DEP_1) | instskip(SKIP_1) | instid1(VALU_DEP_3)
	v_fma_f32 v135, -v96, v128, 1.0
	v_fmaak_f32 v113, s19, v81, 0xbb77644e
	v_add_f32_e32 v3, v1, v2
	v_sub_f32_e32 v5, v2, v7
	v_mul_f32_e32 v7, 0x3f317218, v0
	v_fmac_f32_e32 v128, v135, v128
	s_delay_alu instid0(VALU_DEP_4) | instskip(NEXT) | instid1(VALU_DEP_4)
	v_sub_f32_e32 v1, v3, v1
	v_sub_f32_e32 v5, v6, v5
	s_delay_alu instid0(VALU_DEP_4) | instskip(NEXT) | instid1(VALU_DEP_3)
	v_fma_f32 v6, 0x3f317218, v0, -v7
	v_sub_f32_e32 v1, v2, v1
	s_delay_alu instid0(VALU_DEP_3) | instskip(NEXT) | instid1(VALU_DEP_1)
	v_add_f32_e32 v2, v4, v5
	v_dual_fmamk_f32 v0, v0, 0xb102e308, v6 :: v_dual_add_f32 v1, v2, v1
	s_delay_alu instid0(VALU_DEP_1) | instskip(NEXT) | instid1(VALU_DEP_1)
	v_add_f32_e32 v2, v7, v0
	v_dual_add_f32 v4, v3, v1 :: v_dual_sub_f32 v7, v2, v7
	s_delay_alu instid0(VALU_DEP_1) | instskip(SKIP_1) | instid1(VALU_DEP_3)
	v_add_f32_e32 v5, v2, v4
	v_sub_f32_e32 v3, v4, v3
	v_sub_f32_e32 v0, v0, v7
	s_delay_alu instid0(VALU_DEP_3) | instskip(NEXT) | instid1(VALU_DEP_3)
	v_sub_f32_e32 v6, v5, v2
	v_sub_f32_e32 v1, v1, v3
	s_delay_alu instid0(VALU_DEP_2) | instskip(SKIP_1) | instid1(VALU_DEP_3)
	v_sub_f32_e32 v87, v5, v6
	v_sub_f32_e32 v3, v4, v6
	v_add_f32_e32 v4, v0, v1
	s_delay_alu instid0(VALU_DEP_3) | instskip(SKIP_1) | instid1(VALU_DEP_2)
	v_sub_f32_e32 v2, v2, v87
	v_div_scale_f32 v87, s0, 0x407b535f, v86, 0x407b535f
	v_dual_add_f32 v2, v3, v2 :: v_dual_sub_f32 v3, v4, v0
	s_delay_alu instid0(VALU_DEP_1) | instskip(NEXT) | instid1(VALU_DEP_2)
	v_add_f32_e32 v2, v4, v2
	v_sub_f32_e32 v4, v4, v3
	v_sub_f32_e32 v1, v1, v3
	s_delay_alu instid0(VALU_DEP_3) | instskip(NEXT) | instid1(VALU_DEP_3)
	v_add_f32_e32 v6, v5, v2
	v_sub_f32_e32 v0, v0, v4
	v_mul_f32_e32 v4, 0xbfb8aa3b, v81
	s_delay_alu instid0(VALU_DEP_2) | instskip(NEXT) | instid1(VALU_DEP_2)
	v_dual_sub_f32 v3, v6, v5 :: v_dual_add_f32 v0, v1, v0
	v_rndne_f32_e32 v115, v4
	v_fma_f32 v116, 0xbfb8aa3b, v81, -v4
	v_div_scale_f32 v5, null, v86, v86, 0x407b535f
	s_delay_alu instid0(VALU_DEP_4)
	v_sub_f32_e32 v1, v2, v3
	s_wait_alu 0xfffd
	v_cndmask_b32_e64 v2, 4.0, 1.0, vcc_lo
	v_sub_f32_e32 v4, v4, v115
	v_div_scale_f32 v3, null, v85, v85, 0x41096b0d
	v_add_f32_e32 v0, v0, v1
	v_div_scale_f32 v1, vcc_lo, 0x41096b0d, v85, 0x41096b0d
	s_delay_alu instid0(VALU_DEP_3) | instskip(SKIP_1) | instid1(VALU_DEP_2)
	v_rcp_f32_e32 v118, v3
	v_rcp_f32_e32 v119, v5
	v_add_f32_e32 v7, v6, v0
	v_cvt_i32_f32_e32 v115, v115
	s_delay_alu instid0(VALU_DEP_2) | instskip(NEXT) | instid1(TRANS32_DEP_1)
	v_dual_sub_f32 v6, v7, v6 :: v_dual_mul_f32 v97, v2, v7
	v_fma_f32 v134, -v5, v119, 1.0
	s_delay_alu instid0(VALU_DEP_2) | instskip(NEXT) | instid1(VALU_DEP_3)
	v_sub_f32_e32 v0, v0, v6
	v_fma_f32 v6, v2, v7, -v97
	v_div_scale_f32 v7, null, v84, v84, 0x3e14ca72
	s_delay_alu instid0(VALU_DEP_2)
	v_fmac_f32_e32 v6, v2, v0
	v_fmaak_f32 v0, s3, v81, 0xbdf3ef08
	v_cmp_class_f32_e64 s3, v97, 0x204
	v_fmaak_f32 v2, s15, v81, 0xbd383f42
	v_rcp_f32_e32 v129, v7
	v_add_f32_e32 v100, v97, v6
	v_fmaak_f32 v131, v81, v0, 0xbf400fa6
	v_fmaak_f32 v0, v81, v103, 0x39ac1f68
	;; [unrolled: 1-line block ×4, first 2 shown]
	s_wait_alu 0xf1ff
	v_cndmask_b32_e64 v112, v100, v97, s3
	s_delay_alu instid0(TRANS32_DEP_1) | instskip(NEXT) | instid1(VALU_DEP_2)
	v_fma_f32 v144, -v7, v129, 1.0
	v_cmp_eq_f32_e64 s3, 0x42b17218, v112
	s_delay_alu instid0(VALU_DEP_2) | instskip(SKIP_1) | instid1(VALU_DEP_2)
	v_fmac_f32_e32 v129, v144, v129
	s_wait_alu 0xf1ff
	v_cndmask_b32_e64 v117, 0, 0x37000000, s3
	v_sub_f32_e32 v97, v100, v97
	v_cmp_neq_f32_e64 s3, 0x7f800000, |v112|
	v_dual_fmac_f32 v119, v134, v119 :: v_dual_mul_f32 v134, v99, v129
	s_delay_alu instid0(VALU_DEP_4) | instskip(SKIP_2) | instid1(VALU_DEP_3)
	v_sub_f32_e32 v130, v112, v117
	v_mul_f32_e32 v100, v98, v128
	v_sub_f32_e32 v6, v6, v97
	v_mul_f32_e32 v2, 0x3fb8aa3b, v130
	s_delay_alu instid0(VALU_DEP_3) | instskip(SKIP_1) | instid1(VALU_DEP_3)
	v_fma_f32 v112, -v96, v100, v98
	s_wait_alu 0xf1ff
	v_cndmask_b32_e64 v6, 0, v6, s3
	v_cmp_ngt_f32_e64 s3, 0xc2ce8ed0, v130
	v_rndne_f32_e32 v133, v2
	v_fmamk_f32 v113, v81, 0xb2a5705f, v116
	v_fma_f32 v116, 0x3fb8aa3b, v130, -v2
	v_add_f32_e32 v6, v117, v6
	s_delay_alu instid0(VALU_DEP_4) | instskip(NEXT) | instid1(VALU_DEP_4)
	v_sub_f32_e32 v2, v2, v133
	v_add_f32_e32 v4, v4, v113
	s_delay_alu instid0(VALU_DEP_4)
	v_fmamk_f32 v116, v130, 0x32a5705f, v116
	s_wait_alu 0xfffe
	v_fmaak_f32 v101, s16, v81, 0xbc14f7f1
	v_fma_f32 v113, -v3, v118, 1.0
	v_cvt_i32_f32_e32 v133, v133
	v_exp_f32_e32 v4, v4
	s_delay_alu instid0(VALU_DEP_3) | instskip(SKIP_2) | instid1(VALU_DEP_3)
	v_dual_add_f32 v2, v2, v116 :: v_dual_fmaak_f32 v101, v81, v101, 0x3e3cc2c7
	v_mul_f32_e32 v116, v87, v119
	v_fmac_f32_e32 v118, v113, v118
	v_exp_f32_e32 v2, v2
	s_delay_alu instid0(VALU_DEP_1) | instskip(NEXT) | instid1(TRANS32_DEP_2)
	v_mul_f32_e32 v113, v1, v118
	v_ldexp_f32 v4, v4, v115
	v_fma_f32 v115, -v5, v116, v87
	s_delay_alu instid0(VALU_DEP_3) | instskip(NEXT) | instid1(TRANS32_DEP_1)
	v_fma_f32 v97, -v3, v113, v1
	v_ldexp_f32 v2, v2, v133
	v_fma_f32 v133, -v7, v134, v99
	s_delay_alu instid0(VALU_DEP_3) | instskip(SKIP_1) | instid1(VALU_DEP_3)
	v_dual_fmac_f32 v116, v115, v119 :: v_dual_fmac_f32 v113, v97, v118
	s_wait_alu 0xf1ff
	v_cndmask_b32_e64 v2, 0, v2, s3
	v_cmp_nlt_f32_e64 s3, 0x42b17218, v130
	s_delay_alu instid0(VALU_DEP_3) | instskip(SKIP_2) | instid1(VALU_DEP_3)
	v_fma_f32 v1, -v3, v113, v1
	v_fma_f32 v3, -v5, v116, v87
	s_wait_alu 0xf1ff
	v_cndmask_b32_e64 v2, 0x7f800000, v2, s3
	v_cmp_nlt_f32_e64 s3, 0x42ce8ed0, v81
	s_wait_alu 0xfffd
	v_div_fmas_f32 v1, v1, v118, v113
	s_mov_b32 vcc_lo, s0
	v_fma_f32 v6, v2, v6, v2
	v_cndmask_b32_e64 v4, 0, v4, s3
	v_cmp_ngt_f32_e64 s3, 0xc2b17218, v81
	s_wait_alu 0xf1ff
	s_delay_alu instid0(VALU_DEP_1) | instskip(SKIP_2) | instid1(VALU_DEP_1)
	v_cndmask_b32_e64 v4, 0x7f800000, v4, s3
	v_cmp_class_f32_e64 s3, v2, 0x204
	s_wait_alu 0xf1ff
	v_cndmask_b32_e64 v2, v6, v2, s3
	s_delay_alu instid0(VALU_DEP_1)
	v_mul_f32_e64 v4, v4, |v2|
	v_fmac_f32_e32 v134, v133, v129
	s_wait_alu 0xfffe
	v_div_fmas_f32 v2, v3, v119, v116
	s_mov_b32 vcc_lo, s1
	v_div_fixup_f32 v3, v1, v85, 0x41096b0d
	v_fma_f32 v6, -v7, v134, v99
	v_mul_f32_e32 v7, v114, v4
	v_fmac_f32_e32 v100, v112, v128
	v_div_fixup_f32 v2, v2, v86, 0x407b535f
	v_fmaak_f32 v81, v81, v102, 0x3c8f228e
	v_fmac_f32_e32 v3, v131, v4
	s_delay_alu instid0(VALU_DEP_4) | instskip(NEXT) | instid1(VALU_DEP_4)
	v_fma_f32 v5, -v96, v100, v98
	v_fmac_f32_e32 v2, v132, v4
	s_wait_alu 0xfffe
	s_delay_alu instid0(VALU_DEP_2)
	v_div_fmas_f32 v87, v5, v128, v100
	v_fmamk_f32 v5, v82, 0x3e701b7a, v7
	v_mul_f32_e32 v1, v103, v4
	s_mov_b32 vcc_lo, s2
	s_wait_alu 0xfffe
	v_div_fmas_f32 v7, v6, v129, v134
	v_dual_sub_f32 v86, v82, v5 :: v_dual_mul_f32 v85, v0, v4
	v_fmamk_f32 v6, v82, 0x3c9ddd0b, v1
	v_div_fixup_f32 v1, v87, v83, 0x3fab678a
	s_delay_alu instid0(VALU_DEP_4) | instskip(NEXT) | instid1(VALU_DEP_4)
	v_div_fixup_f32 v0, v7, v84, 0x3e14ca72
                                        ; implicit-def: $vgpr84
                                        ; implicit-def: $vgpr83
	v_fmamk_f32 v7, v82, 0x396c2b78, v85
	s_delay_alu instid0(VALU_DEP_3) | instskip(NEXT) | instid1(VALU_DEP_3)
	v_dual_sub_f32 v82, v86, v6 :: v_dual_fmac_f32 v1, v101, v4
	v_fmac_f32_e32 v0, v81, v4
                                        ; implicit-def: $vgpr86
                                        ; implicit-def: $vgpr85
	s_delay_alu instid0(VALU_DEP_2)
	v_sub_f32_e32 v4, v82, v7
                                        ; implicit-def: $vgpr82
.LBB0_70:
	s_wait_alu 0xfffe
	s_and_not1_saveexec_b32 s3, s14
	s_cbranch_execz .LBB0_72
; %bb.71:
	v_div_scale_f32 v0, null, v84, v84, 0x3e14ca72
	v_div_scale_f32 v1, null, v83, v83, 0x3fab678a
	;; [unrolled: 1-line block ×3, first 2 shown]
	s_delay_alu instid0(VALU_DEP_3) | instskip(SKIP_1) | instid1(VALU_DEP_3)
	v_rcp_f32_e32 v2, v0
	v_div_scale_f32 v4, null, v85, v85, 0x41096b0d
	v_rcp_f32_e32 v5, v1
	s_delay_alu instid0(VALU_DEP_2) | instskip(SKIP_1) | instid1(VALU_DEP_2)
	v_rcp_f32_e32 v6, v3
	v_div_scale_f32 v96, vcc_lo, 0x3e14ca72, v84, 0x3e14ca72
	v_rcp_f32_e32 v7, v4
	v_fma_f32 v81, -v0, v2, 1.0
	s_delay_alu instid0(TRANS32_DEP_3) | instskip(NEXT) | instid1(TRANS32_DEP_2)
	v_fma_f32 v87, -v1, v5, 1.0
	v_fma_f32 v97, -v3, v6, 1.0
	s_delay_alu instid0(VALU_DEP_3) | instskip(SKIP_1) | instid1(TRANS32_DEP_1)
	v_fmac_f32_e32 v2, v81, v2
	v_div_scale_f32 v81, s0, 0x3fab678a, v83, 0x3fab678a
	v_fma_f32 v98, -v4, v7, 1.0
	s_delay_alu instid0(VALU_DEP_4) | instskip(SKIP_1) | instid1(VALU_DEP_3)
	v_dual_fmac_f32 v5, v87, v5 :: v_dual_fmac_f32 v6, v97, v6
	v_div_scale_f32 v87, s1, 0x407b535f, v86, 0x407b535f
	v_dual_fmac_f32 v7, v98, v7 :: v_dual_mul_f32 v98, v96, v2
	s_delay_alu instid0(VALU_DEP_3) | instskip(SKIP_1) | instid1(VALU_DEP_4)
	v_mul_f32_e32 v99, v81, v5
	v_div_scale_f32 v97, s2, 0x41096b0d, v85, 0x41096b0d
	v_mul_f32_e32 v100, v87, v6
	s_delay_alu instid0(VALU_DEP_4) | instskip(NEXT) | instid1(VALU_DEP_4)
	v_fma_f32 v102, -v0, v98, v96
	v_fma_f32 v103, -v1, v99, v81
	s_delay_alu instid0(VALU_DEP_4) | instskip(NEXT) | instid1(VALU_DEP_4)
	v_mul_f32_e32 v101, v97, v7
	v_fma_f32 v112, -v3, v100, v87
	s_delay_alu instid0(VALU_DEP_3) | instskip(NEXT) | instid1(VALU_DEP_3)
	v_dual_fmac_f32 v98, v102, v2 :: v_dual_fmac_f32 v99, v103, v5
	v_fma_f32 v113, -v4, v101, v97
	s_delay_alu instid0(VALU_DEP_3) | instskip(NEXT) | instid1(VALU_DEP_3)
	v_fmac_f32_e32 v100, v112, v6
	v_fma_f32 v0, -v0, v98, v96
	s_delay_alu instid0(VALU_DEP_4) | instskip(NEXT) | instid1(VALU_DEP_4)
	v_fma_f32 v1, -v1, v99, v81
	v_fmac_f32_e32 v101, v113, v7
	s_delay_alu instid0(VALU_DEP_4)
	v_fma_f32 v3, -v3, v100, v87
	s_wait_alu 0xfffd
	v_div_fmas_f32 v0, v0, v2, v98
	s_mov_b32 vcc_lo, s0
	v_fma_f32 v4, -v4, v101, v97
	s_wait_alu 0xfffe
	v_div_fmas_f32 v1, v1, v5, v99
	s_mov_b32 vcc_lo, s1
	v_div_fixup_f32 v0, v0, v84, 0x3e14ca72
	s_wait_alu 0xfffe
	v_div_fmas_f32 v2, v3, v6, v100
	v_fmamk_f32 v3, v82, 0xbe701b7a, v82
	s_mov_b32 vcc_lo, s2
	v_div_fixup_f32 v1, v1, v83, 0x3fab678a
	s_wait_alu 0xfffe
	v_div_fmas_f32 v4, v4, v7, v101
	v_div_fixup_f32 v2, v2, v86, 0x407b535f
	v_fmamk_f32 v81, v82, 0xbc9ddd0b, v3
	v_mul_f32_e32 v7, 0x396c2b78, v82
	v_mul_f32_e32 v6, 0x3c9ddd0b, v82
	v_div_fixup_f32 v3, v4, v85, 0x41096b0d
	v_mul_f32_e32 v5, 0x3e701b7a, v82
	v_fmamk_f32 v4, v82, 0xb96c2b78, v81
.LBB0_72:
	s_wait_alu 0xfffe
	s_or_b32 exec_lo, exec_lo, s3
.LBB0_73:
	s_wait_alu 0xfffe
	s_or_b32 exec_lo, exec_lo, s13
.LBB0_74:
	s_wait_alu 0xfffe
	s_or_b32 exec_lo, exec_lo, s12
.LBB0_75:
	s_wait_alu 0xfffe
	s_or_b32 exec_lo, exec_lo, s11
.LBB0_76:
	s_wait_alu 0xfffe
	s_or_b32 exec_lo, exec_lo, s10
.LBB0_77:
	s_wait_alu 0xfffe
	s_or_b32 exec_lo, exec_lo, s9
.LBB0_78:
	s_wait_alu 0xfffe
	s_or_b32 exec_lo, exec_lo, s8
.LBB0_79:
	s_wait_alu 0xfffe
	s_or_b32 exec_lo, exec_lo, s7
	s_clause 0x1
	scratch_store_b128 off, v[0:3], s32
	scratch_store_b128 off, v[4:7], s32 offset:32
.LBB0_80:
	s_wait_alu 0xfffe
	s_or_b32 exec_lo, exec_lo, s6
.LBB0_81:
	s_wait_alu 0xfffe
	s_or_b32 exec_lo, exec_lo, s4
                                        ; implicit-def: $vgpr81
.LBB0_82:
	s_wait_alu 0xfffe
	s_and_not1_saveexec_b32 s4, s5
	s_cbranch_execz .LBB0_221
; %bb.83:
                                        ; implicit-def: $vgpr4
                                        ; implicit-def: $vgpr5
                                        ; implicit-def: $vgpr0
                                        ; implicit-def: $vgpr3
                                        ; implicit-def: $vgpr2
                                        ; implicit-def: $vgpr1
	s_mov_b32 s0, exec_lo
	v_cmpx_ngt_f32_e32 0x34a10fb0, v81
	s_wait_alu 0xfffe
	s_xor_b32 s5, exec_lo, s0
	s_cbranch_execz .LBB0_202
; %bb.84:
                                        ; implicit-def: $vgpr4
                                        ; implicit-def: $vgpr5
                                        ; implicit-def: $vgpr0
                                        ; implicit-def: $vgpr3
                                        ; implicit-def: $vgpr2
                                        ; implicit-def: $vgpr1
	s_mov_b32 s0, exec_lo
	v_cmpx_ngt_f32_e32 1.0, v81
	s_wait_alu 0xfffe
	s_xor_b32 s6, exec_lo, s0
	s_cbranch_execz .LBB0_188
; %bb.85:
                                        ; implicit-def: $vgpr4
                                        ; implicit-def: $vgpr5
                                        ; implicit-def: $vgpr0
                                        ; implicit-def: $vgpr3
                                        ; implicit-def: $vgpr2
                                        ; implicit-def: $vgpr1
	s_mov_b32 s0, exec_lo
	v_cmpx_ngt_f32_e32 0x40400000, v81
	s_wait_alu 0xfffe
	s_xor_b32 s7, exec_lo, s0
	s_cbranch_execz .LBB0_174
; %bb.86:
                                        ; implicit-def: $vgpr4
                                        ; implicit-def: $vgpr5
                                        ; implicit-def: $vgpr0
                                        ; implicit-def: $vgpr3
                                        ; implicit-def: $vgpr2
                                        ; implicit-def: $vgpr1
	s_mov_b32 s0, exec_lo
	v_cmpx_ngt_f32_e32 0x40a00000, v81
	;; [unrolled: 12-line block ×5, first 2 shown]
	s_wait_alu 0xfffe
	s_xor_b32 s3, exec_lo, s0
	s_cbranch_execz .LBB0_111
; %bb.90:
	v_div_scale_f32 v0, null, v81, v81, 0x3f490fdb
	v_div_scale_f32 v3, vcc_lo, 0x3f490fdb, v81, 0x3f490fdb
	s_delay_alu instid0(VALU_DEP_2) | instskip(NEXT) | instid1(TRANS32_DEP_1)
	v_rcp_f32_e32 v1, v0
	v_fma_f32 v2, -v0, v1, 1.0
	s_delay_alu instid0(VALU_DEP_1) | instskip(NEXT) | instid1(VALU_DEP_1)
	v_fmac_f32_e32 v1, v2, v1
	v_mul_f32_e32 v2, v3, v1
	s_delay_alu instid0(VALU_DEP_1) | instskip(NEXT) | instid1(VALU_DEP_1)
	v_fma_f32 v4, -v0, v2, v3
	v_fmac_f32_e32 v2, v4, v1
	s_delay_alu instid0(VALU_DEP_1) | instskip(SKIP_1) | instid1(VALU_DEP_1)
	v_fma_f32 v0, -v0, v2, v3
	s_wait_alu 0xfffd
	v_div_fmas_f32 v0, v0, v1, v2
	s_delay_alu instid0(VALU_DEP_1) | instskip(NEXT) | instid1(VALU_DEP_1)
	v_div_fixup_f32 v0, v0, v81, 0x3f490fdb
	v_mul_f32_e32 v1, 0x4f800000, v0
	v_cmp_gt_f32_e32 vcc_lo, 0xf800000, v0
	s_wait_alu 0xfffd
	s_delay_alu instid0(VALU_DEP_2) | instskip(NEXT) | instid1(VALU_DEP_1)
	v_cndmask_b32_e32 v0, v0, v1, vcc_lo
	v_sqrt_f32_e32 v1, v0
	s_delay_alu instid0(TRANS32_DEP_1) | instskip(SKIP_1) | instid1(VALU_DEP_2)
	v_add_nc_u32_e32 v2, -1, v1
	v_add_nc_u32_e32 v3, 1, v1
	v_fma_f32 v4, -v2, v1, v0
	s_delay_alu instid0(VALU_DEP_2) | instskip(NEXT) | instid1(VALU_DEP_2)
	v_fma_f32 v5, -v3, v1, v0
	v_cmp_ge_f32_e64 s0, 0, v4
                                        ; implicit-def: $vgpr4
	s_wait_alu 0xf1ff
	s_delay_alu instid0(VALU_DEP_1) | instskip(NEXT) | instid1(VALU_DEP_3)
	v_cndmask_b32_e64 v1, v1, v2, s0
	v_cmp_lt_f32_e64 s0, 0, v5
                                        ; implicit-def: $vgpr5
	s_wait_alu 0xf1ff
	s_delay_alu instid0(VALU_DEP_1) | instskip(SKIP_1) | instid1(VALU_DEP_1)
	v_cndmask_b32_e64 v1, v1, v3, s0
                                        ; implicit-def: $vgpr3
	s_mov_b32 s0, exec_lo
	v_mul_f32_e32 v2, 0x37800000, v1
	s_delay_alu instid0(VALU_DEP_1) | instskip(SKIP_2) | instid1(VALU_DEP_2)
	v_cndmask_b32_e32 v1, v1, v2, vcc_lo
	v_cmp_class_f32_e64 vcc_lo, v0, 0x260
                                        ; implicit-def: $vgpr2
	s_wait_alu 0xfffd
	v_cndmask_b32_e32 v0, v1, v0, vcc_lo
                                        ; implicit-def: $vgpr1
	v_cmpx_lt_i32_e32 0, v24
	s_wait_alu 0xfffe
	s_xor_b32 s11, exec_lo, s0
	s_cbranch_execz .LBB0_106
; %bb.91:
                                        ; implicit-def: $vgpr4
                                        ; implicit-def: $vgpr5
                                        ; implicit-def: $vgpr3
                                        ; implicit-def: $vgpr2
                                        ; implicit-def: $vgpr1
	s_mov_b32 s0, exec_lo
	v_cmpx_lt_i32_e32 1, v24
	s_wait_alu 0xfffe
	s_xor_b32 s12, exec_lo, s0
	s_cbranch_execz .LBB0_99
; %bb.92:
	v_dual_mov_b32 v4, 0 :: v_dual_mov_b32 v5, 0
	v_dual_mov_b32 v3, 0 :: v_dual_mov_b32 v2, 0
	v_mov_b32_e32 v1, 0
	s_mov_b32 s13, exec_lo
	v_cmpx_eq_u32_e32 2, v24
	s_cbranch_execz .LBB0_98
; %bb.93:
                                        ; implicit-def: $vgpr4
                                        ; implicit-def: $vgpr5
                                        ; implicit-def: $vgpr3
                                        ; implicit-def: $vgpr2
                                        ; implicit-def: $vgpr1
	s_mov_b32 s0, exec_lo
	v_cmpx_ngt_f32_e32 0x423c0000, v81
	s_wait_alu 0xfffe
	s_xor_b32 s2, exec_lo, s0
	s_cbranch_execz .LBB0_95
; %bb.94:
	v_add_f32_e32 v3, 0xc0b0cf9e, v81
	s_delay_alu instid0(VALU_DEP_1) | instskip(SKIP_1) | instid1(VALU_DEP_2)
	v_div_scale_f32 v7, null, v3, v3, 0x40b0cf9e
	v_div_scale_f32 v96, s1, 0x40b0cf9e, v3, 0x40b0cf9e
	v_rcp_f32_e32 v83, v7
	s_delay_alu instid0(TRANS32_DEP_1) | instskip(NEXT) | instid1(VALU_DEP_1)
	v_fma_f32 v87, -v7, v83, 1.0
	v_dual_add_f32 v2, 0xbfe46a42, v81 :: v_dual_fmac_f32 v83, v87, v83
	s_delay_alu instid0(VALU_DEP_1) | instskip(SKIP_1) | instid1(VALU_DEP_2)
	v_div_scale_f32 v6, null, v2, v2, 0x3fe46a42
	v_div_scale_f32 v85, s0, 0x3fe46a42, v2, 0x3fe46a42
	v_rcp_f32_e32 v82, v6
	s_delay_alu instid0(TRANS32_DEP_1) | instskip(NEXT) | instid1(VALU_DEP_1)
	v_fma_f32 v86, -v6, v82, 1.0
	v_dual_add_f32 v1, 0xbe42ba39, v81 :: v_dual_fmac_f32 v82, v86, v82
	s_delay_alu instid0(VALU_DEP_1) | instskip(SKIP_1) | instid1(VALU_DEP_3)
	v_div_scale_f32 v4, null, v1, v1, 0x3e42ba39
	v_div_scale_f32 v84, vcc_lo, 0x3e42ba39, v1, 0x3e42ba39
	v_mul_f32_e32 v87, v85, v82
	s_delay_alu instid0(VALU_DEP_3) | instskip(NEXT) | instid1(VALU_DEP_1)
	v_rcp_f32_e32 v81, v4
	v_fma_f32 v98, -v6, v87, v85
	s_delay_alu instid0(VALU_DEP_1) | instskip(NEXT) | instid1(TRANS32_DEP_1)
	v_fmac_f32_e32 v87, v98, v82
	v_fma_f32 v5, -v4, v81, 1.0
	s_delay_alu instid0(VALU_DEP_1) | instskip(NEXT) | instid1(VALU_DEP_1)
	v_fmac_f32_e32 v81, v5, v81
	v_mul_f32_e32 v86, v84, v81
	s_delay_alu instid0(VALU_DEP_1) | instskip(NEXT) | instid1(VALU_DEP_1)
	v_fma_f32 v5, -v4, v86, v84
	v_dual_mul_f32 v97, v96, v83 :: v_dual_fmac_f32 v86, v5, v81
	s_delay_alu instid0(VALU_DEP_1) | instskip(SKIP_1) | instid1(VALU_DEP_3)
	v_fma_f32 v99, -v7, v97, v96
	v_mul_f32_e32 v5, 0x3e357c2c, v0
	v_fma_f32 v4, -v4, v86, v84
	s_wait_alu 0xfffd
	s_delay_alu instid0(VALU_DEP_1) | instskip(SKIP_3) | instid1(VALU_DEP_3)
	v_div_fmas_f32 v81, v4, v81, v86
	v_mul_f32_e32 v4, 0x3ba77ef2, v0
	v_fma_f32 v6, -v6, v87, v85
	s_mov_b32 vcc_lo, s0
	v_div_fixup_f32 v1, v81, v1, 0x3e42ba39
                                        ; implicit-def: $vgpr81
	s_wait_alu 0xfffe
	s_delay_alu instid0(VALU_DEP_2) | instskip(SKIP_2) | instid1(VALU_DEP_2)
	v_div_fmas_f32 v6, v6, v82, v87
	v_dual_fmamk_f32 v82, v0, 0xbe357c2c, v0 :: v_dual_fmac_f32 v97, v99, v83
	s_mov_b32 vcc_lo, s1
	v_div_fixup_f32 v2, v6, v2, 0x3fe46a42
	s_delay_alu instid0(VALU_DEP_2) | instskip(NEXT) | instid1(VALU_DEP_3)
	v_fmamk_f32 v0, v0, 0xbba77ef2, v82
	v_fma_f32 v7, -v7, v97, v96
	s_wait_alu 0xfffe
	s_delay_alu instid0(VALU_DEP_1) | instskip(NEXT) | instid1(VALU_DEP_1)
	v_div_fmas_f32 v7, v7, v83, v97
	v_div_fixup_f32 v3, v7, v3, 0x40b0cf9e
.LBB0_95:
	s_wait_alu 0xfffe
	s_and_not1_saveexec_b32 s14, s2
	s_cbranch_execz .LBB0_97
; %bb.96:
	v_add_f32_e32 v4, 0xbfe46a42, v81
	s_mov_b32 s1, 0xc293bec9
	v_cmp_nlt_f32_e64 s2, 0x42ce8ed0, v81
	s_mov_b32 s15, 0x42760770
	s_mov_b32 s0, 0xc0ec7fab
	v_div_scale_f32 v83, null, v4, v4, 0x3fe46a42
	s_delay_alu instid0(VALU_DEP_1) | instskip(NEXT) | instid1(TRANS32_DEP_1)
	v_rcp_f32_e32 v86, v83
	v_fma_f32 v98, -v83, v86, 1.0
	s_delay_alu instid0(VALU_DEP_1) | instskip(SKIP_1) | instid1(VALU_DEP_1)
	v_fmac_f32_e32 v86, v98, v86
	v_mul_f32_e32 v2, 0xbfb8aa3b, v81
	v_rndne_f32_e32 v7, v2
	v_add_f32_e32 v1, 0xbe42ba39, v81
	v_fma_f32 v82, 0xbfb8aa3b, v81, -v2
	s_delay_alu instid0(VALU_DEP_3) | instskip(NEXT) | instid1(VALU_DEP_3)
	v_sub_f32_e32 v2, v2, v7
	v_div_scale_f32 v3, null, v1, v1, 0x3e42ba39
	v_div_scale_f32 v96, vcc_lo, 0x3e42ba39, v1, 0x3e42ba39
	v_cvt_i32_f32_e32 v7, v7
	s_delay_alu instid0(VALU_DEP_3) | instskip(NEXT) | instid1(TRANS32_DEP_1)
	v_rcp_f32_e32 v5, v3
	v_fma_f32 v87, -v3, v5, 1.0
	s_delay_alu instid0(VALU_DEP_1) | instskip(SKIP_1) | instid1(VALU_DEP_1)
	v_dual_fmamk_f32 v82, v81, 0xb2a5705f, v82 :: v_dual_fmac_f32 v5, v87, v5
	s_wait_alu 0xfffe
	v_dual_fmaak_f32 v85, s1, v81, 0x4543fb32 :: v_dual_add_f32 v2, v2, v82
	s_delay_alu instid0(VALU_DEP_2) | instskip(NEXT) | instid1(VALU_DEP_2)
	v_mul_f32_e32 v99, v96, v5
	v_fmaak_f32 v85, v81, v85, 0xc7171e49
	v_add_f32_e32 v6, 0xc0b0cf9e, v81
	s_delay_alu instid0(VALU_DEP_4) | instskip(NEXT) | instid1(VALU_DEP_3)
	v_exp_f32_e32 v2, v2
	v_fma_f32 v101, -v3, v99, v96
	s_delay_alu instid0(VALU_DEP_2) | instskip(NEXT) | instid1(VALU_DEP_1)
	v_div_scale_f32 v97, null, v6, v6, 0x40b0cf9e
	v_rcp_f32_e32 v87, v97
	s_delay_alu instid0(TRANS32_DEP_2) | instskip(SKIP_1) | instid1(VALU_DEP_1)
	v_ldexp_f32 v2, v2, v7
	s_wait_alu 0xf1ff
	v_cndmask_b32_e64 v2, 0, v2, s2
	s_mov_b32 s2, 0x3e1be9c5
	s_delay_alu instid0(TRANS32_DEP_1) | instskip(NEXT) | instid1(VALU_DEP_1)
	v_fma_f32 v98, -v97, v87, 1.0
	v_fmac_f32_e32 v87, v98, v87
	v_fmac_f32_e32 v99, v101, v5
	s_delay_alu instid0(VALU_DEP_1) | instskip(SKIP_1) | instid1(VALU_DEP_1)
	v_fma_f32 v3, -v3, v99, v96
	s_wait_alu 0xfffd
	v_div_fmas_f32 v3, v3, v5, v99
	v_cmp_ngt_f32_e32 vcc_lo, 0xc2b17218, v81
	s_delay_alu instid0(VALU_DEP_2) | instskip(SKIP_3) | instid1(VALU_DEP_1)
	v_div_fixup_f32 v1, v3, v1, 0x3e42ba39
	s_wait_alu 0xfffd
	v_cndmask_b32_e32 v99, 0x7f800000, v2, vcc_lo
	v_fmaak_f32 v3, s15, v81, 0xc5367ce7
	v_fmaak_f32 v3, v81, v3, 0x4714bf6e
	;; [unrolled: 1-line block ×3, first 2 shown]
	v_div_scale_f32 v82, s0, 0x3fe46a42, v4, 0x3fe46a42
	s_mov_b32 vcc_lo, s0
	v_mul_f32_e32 v7, v82, v86
	s_delay_alu instid0(VALU_DEP_1) | instskip(NEXT) | instid1(VALU_DEP_1)
	v_fma_f32 v96, -v83, v7, v82
	v_fmac_f32_e32 v7, v96, v86
	v_div_scale_f32 v100, s1, 0x40b0cf9e, v6, 0x40b0cf9e
	s_delay_alu instid0(VALU_DEP_2) | instskip(NEXT) | instid1(VALU_DEP_2)
	v_fma_f32 v82, -v83, v7, v82
	v_mul_f32_e32 v98, v100, v87
	s_wait_alu 0xfffe
	s_delay_alu instid0(VALU_DEP_2) | instskip(NEXT) | instid1(VALU_DEP_2)
	v_div_fmas_f32 v7, v82, v86, v7
	v_fma_f32 v5, -v97, v98, v100
	s_mov_b32 vcc_lo, s1
	s_delay_alu instid0(VALU_DEP_1) | instskip(SKIP_3) | instid1(VALU_DEP_3)
	v_fmac_f32_e32 v98, v5, v87
	v_dual_mul_f32 v3, v99, v3 :: v_dual_fmaak_f32 v84, v81, v84, 0xc579a564
	v_fmaak_f32 v2, s2, v81, 0xc104e7e9
	s_mov_b32 s2, 0xc383e013
	v_fma_f32 v5, -v97, v98, v100
	s_wait_alu 0xfffe
	v_dual_fmaak_f32 v82, s2, v81, 0x462324de :: v_dual_fmac_f32 v1, v99, v84
	s_delay_alu instid0(VALU_DEP_2) | instskip(SKIP_1) | instid1(VALU_DEP_2)
	v_div_fmas_f32 v83, v5, v87, v98
	v_fmamk_f32 v5, v0, 0x3e357c2c, v3
	v_div_fixup_f32 v3, v83, v6, 0x40b0cf9e
	v_fmaak_f32 v2, v81, v2, 0x4340fa35
	s_delay_alu instid0(VALU_DEP_1) | instskip(NEXT) | instid1(VALU_DEP_1)
	v_fmaak_f32 v2, v81, v2, 0xc4d1bc23
	v_mul_f32_e32 v86, v99, v2
	v_div_fixup_f32 v2, v7, v4, 0x3fe46a42
	s_delay_alu instid0(VALU_DEP_2) | instskip(NEXT) | instid1(VALU_DEP_2)
	v_fmamk_f32 v4, v0, 0x3ba77ef2, v86
	v_fmac_f32_e32 v2, v99, v85
	v_dual_sub_f32 v0, v0, v5 :: v_dual_fmaak_f32 v7, v81, v82, 0xc7fa2f4a
	s_delay_alu instid0(VALU_DEP_1)
	v_dual_sub_f32 v0, v0, v4 :: v_dual_fmac_f32 v3, v99, v7
.LBB0_97:
	s_wait_alu 0xfffe
	s_or_b32 exec_lo, exec_lo, s14
.LBB0_98:
	s_wait_alu 0xfffe
	s_or_b32 exec_lo, exec_lo, s13
                                        ; implicit-def: $vgpr81
.LBB0_99:
	s_wait_alu 0xfffe
	s_and_not1_saveexec_b32 s2, s12
	s_cbranch_execz .LBB0_105
; %bb.100:
	v_mul_f32_e32 v5, 0x3dbbe852, v0
                                        ; implicit-def: $vgpr2
                                        ; implicit-def: $vgpr1
	s_mov_b32 s0, exec_lo
	v_cmpx_ngt_f32_e32 0x42200000, v81
	s_wait_alu 0xfffe
	s_xor_b32 s1, exec_lo, s0
	s_cbranch_execz .LBB0_102
; %bb.101:
	v_add_f32_e32 v1, 0xbe8cee3d, v81
	v_add_f32_e32 v2, 0xc02e6238, v81
	v_fmamk_f32 v0, v0, 0xbdbbe852, v0
	s_delay_alu instid0(VALU_DEP_3) | instskip(NEXT) | instid1(VALU_DEP_3)
	v_div_scale_f32 v3, null, v1, v1, 0x3e8cee3d
	v_div_scale_f32 v4, null, v2, v2, 0x402e6238
	s_delay_alu instid0(VALU_DEP_2) | instskip(NEXT) | instid1(VALU_DEP_1)
	v_rcp_f32_e32 v6, v3
	v_rcp_f32_e32 v7, v4
	s_delay_alu instid0(TRANS32_DEP_2) | instskip(NEXT) | instid1(TRANS32_DEP_1)
	v_fma_f32 v81, -v3, v6, 1.0
	v_fma_f32 v82, -v4, v7, 1.0
	s_delay_alu instid0(VALU_DEP_2) | instskip(SKIP_1) | instid1(VALU_DEP_3)
	v_fmac_f32_e32 v6, v81, v6
	v_div_scale_f32 v83, vcc_lo, 0x3e8cee3d, v1, 0x3e8cee3d
	v_fmac_f32_e32 v7, v82, v7
	v_div_scale_f32 v81, s0, 0x402e6238, v2, 0x402e6238
	s_delay_alu instid0(VALU_DEP_3) | instskip(NEXT) | instid1(VALU_DEP_2)
	v_mul_f32_e32 v82, v83, v6
	v_mul_f32_e32 v84, v81, v7
	s_delay_alu instid0(VALU_DEP_2) | instskip(NEXT) | instid1(VALU_DEP_2)
	v_fma_f32 v85, -v3, v82, v83
	v_fma_f32 v86, -v4, v84, v81
	s_delay_alu instid0(VALU_DEP_2) | instskip(NEXT) | instid1(VALU_DEP_2)
	v_fmac_f32_e32 v82, v85, v6
	v_fmac_f32_e32 v84, v86, v7
	s_delay_alu instid0(VALU_DEP_2) | instskip(NEXT) | instid1(VALU_DEP_2)
	v_fma_f32 v3, -v3, v82, v83
	v_fma_f32 v4, -v4, v84, v81
                                        ; implicit-def: $vgpr81
	s_wait_alu 0xfffd
	s_delay_alu instid0(VALU_DEP_2) | instskip(SKIP_3) | instid1(VALU_DEP_2)
	v_div_fmas_f32 v3, v3, v6, v82
	s_mov_b32 vcc_lo, s0
	s_wait_alu 0xfffe
	v_div_fmas_f32 v4, v4, v7, v84
	v_div_fixup_f32 v1, v3, v1, 0x3e8cee3d
	s_delay_alu instid0(VALU_DEP_2)
	v_div_fixup_f32 v2, v4, v2, 0x402e6238
.LBB0_102:
	s_wait_alu 0xfffe
	s_and_not1_saveexec_b32 s12, s1
	s_cbranch_execz .LBB0_104
; %bb.103:
	v_add_f32_e32 v1, 0xbe8cee3d, v81
	v_mul_f32_e32 v7, 0xbfb8aa3b, v81
	s_mov_b32 s1, 0x408efe8f
	s_mov_b32 s13, 0xbf6102b1
	;; [unrolled: 1-line block ×3, first 2 shown]
	v_div_scale_f32 v3, null, v1, v1, 0x3e8cee3d
	v_rndne_f32_e32 v83, v7
	v_add_f32_e32 v2, 0xc02e6238, v81
	v_fma_f32 v84, 0xbfb8aa3b, v81, -v7
	s_delay_alu instid0(VALU_DEP_4) | instskip(NEXT) | instid1(VALU_DEP_3)
	v_rcp_f32_e32 v6, v3
	v_sub_f32_e32 v7, v7, v83
	s_delay_alu instid0(VALU_DEP_3) | instskip(NEXT) | instid1(VALU_DEP_3)
	v_div_scale_f32 v4, null, v2, v2, 0x402e6238
	v_fmamk_f32 v84, v81, 0xb2a5705f, v84
	v_cvt_i32_f32_e32 v83, v83
	s_delay_alu instid0(VALU_DEP_3) | instskip(NEXT) | instid1(TRANS32_DEP_2)
	v_rcp_f32_e32 v82, v4
	v_fma_f32 v85, -v3, v6, 1.0
	s_delay_alu instid0(VALU_DEP_1) | instskip(SKIP_2) | instid1(TRANS32_DEP_1)
	v_fmac_f32_e32 v6, v85, v6
	v_div_scale_f32 v86, vcc_lo, 0x3e8cee3d, v1, 0x3e8cee3d
	v_add_f32_e32 v7, v7, v84
	v_fma_f32 v87, -v4, v82, 1.0
	v_div_scale_f32 v85, s0, 0x402e6238, v2, 0x402e6238
	s_delay_alu instid0(VALU_DEP_4) | instskip(NEXT) | instid1(VALU_DEP_4)
	v_mul_f32_e32 v84, v86, v6
	v_exp_f32_e32 v7, v7
	s_delay_alu instid0(VALU_DEP_3) | instskip(NEXT) | instid1(VALU_DEP_2)
	v_fmac_f32_e32 v82, v87, v82
	v_fma_f32 v96, -v3, v84, v86
	s_delay_alu instid0(VALU_DEP_1) | instskip(NEXT) | instid1(TRANS32_DEP_1)
	v_fmac_f32_e32 v84, v96, v6
	v_ldexp_f32 v7, v7, v83
	s_wait_alu 0xfffe
	v_fmaak_f32 v83, s1, v81, 0xc29bd9a2
	v_cmp_nlt_f32_e64 s1, 0x42ce8ed0, v81
	v_fma_f32 v3, -v3, v84, v86
	s_wait_alu 0xf1ff
	s_delay_alu instid0(VALU_DEP_2) | instskip(SKIP_4) | instid1(VALU_DEP_2)
	v_cndmask_b32_e64 v7, 0, v7, s1
	v_mul_f32_e32 v87, v85, v82
	s_wait_alu 0xfffd
	v_div_fmas_f32 v3, v3, v6, v84
	s_mov_b32 vcc_lo, s0
	v_fma_f32 v97, -v4, v87, v85
	s_delay_alu instid0(VALU_DEP_2) | instskip(NEXT) | instid1(VALU_DEP_2)
	v_div_fixup_f32 v1, v3, v1, 0x3e8cee3d
	v_fmac_f32_e32 v87, v97, v82
	s_delay_alu instid0(VALU_DEP_1) | instskip(SKIP_1) | instid1(VALU_DEP_1)
	v_fma_f32 v4, -v4, v87, v85
	s_wait_alu 0xfffe
	v_div_fmas_f32 v4, v4, v82, v87
	v_cmp_ngt_f32_e32 vcc_lo, 0xc2b17218, v81
	s_delay_alu instid0(VALU_DEP_2) | instskip(SKIP_4) | instid1(VALU_DEP_3)
	v_div_fixup_f32 v2, v4, v2, 0x402e6238
	s_wait_alu 0xfffd
	v_cndmask_b32_e32 v6, 0x7f800000, v7, vcc_lo
	v_fmaak_f32 v7, s13, v81, 0x412eca38
	v_fmaak_f32 v81, s14, v81, 0x42a220e4
	v_fmac_f32_e32 v5, v6, v83
	s_delay_alu instid0(VALU_DEP_3) | instskip(NEXT) | instid1(VALU_DEP_3)
	v_fmac_f32_e32 v1, v6, v7
	v_fmac_f32_e32 v2, v6, v81
	s_delay_alu instid0(VALU_DEP_3)
	v_sub_f32_e32 v0, v0, v5
.LBB0_104:
	s_wait_alu 0xfffe
	s_or_b32 exec_lo, exec_lo, s12
	v_dual_mov_b32 v4, 0 :: v_dual_mov_b32 v3, 0
.LBB0_105:
	s_wait_alu 0xfffe
	s_or_b32 exec_lo, exec_lo, s2
                                        ; implicit-def: $vgpr81
.LBB0_106:
	s_wait_alu 0xfffe
	s_and_not1_saveexec_b32 s0, s11
	s_cbranch_execz .LBB0_110
; %bb.107:
	v_dual_mov_b32 v4, 0 :: v_dual_mov_b32 v1, 0
	s_mov_b32 s1, exec_lo
	v_cmpx_eq_u32_e32 0, v24
	s_cbranch_execz .LBB0_109
; %bb.108:
	v_add_f32_e32 v1, -0.5, v81
	s_delay_alu instid0(VALU_DEP_1) | instskip(NEXT) | instid1(VALU_DEP_1)
	v_div_scale_f32 v2, null, v1, v1, 0.5
	v_rcp_f32_e32 v3, v2
	s_delay_alu instid0(TRANS32_DEP_1) | instskip(NEXT) | instid1(VALU_DEP_1)
	v_fma_f32 v5, -v2, v3, 1.0
	v_fmac_f32_e32 v3, v5, v3
	v_div_scale_f32 v5, vcc_lo, 0.5, v1, 0.5
	s_delay_alu instid0(VALU_DEP_1) | instskip(NEXT) | instid1(VALU_DEP_1)
	v_mul_f32_e32 v6, v5, v3
	v_fma_f32 v7, -v2, v6, v5
	s_delay_alu instid0(VALU_DEP_1) | instskip(NEXT) | instid1(VALU_DEP_1)
	v_fmac_f32_e32 v6, v7, v3
	v_fma_f32 v2, -v2, v6, v5
	s_wait_alu 0xfffd
	s_delay_alu instid0(VALU_DEP_1) | instskip(NEXT) | instid1(VALU_DEP_1)
	v_div_fmas_f32 v2, v2, v3, v6
	v_div_fixup_f32 v1, v2, v1, 0.5
.LBB0_109:
	s_wait_alu 0xfffe
	s_or_b32 exec_lo, exec_lo, s1
	v_dual_mov_b32 v5, 0 :: v_dual_mov_b32 v2, 0
	v_mov_b32_e32 v3, 0
.LBB0_110:
	s_wait_alu 0xfffe
	s_or_b32 exec_lo, exec_lo, s0
                                        ; implicit-def: $vgpr81
.LBB0_111:
	s_wait_alu 0xfffe
	s_and_not1_saveexec_b32 s11, s3
	s_cbranch_execz .LBB0_129
; %bb.112:
	v_div_scale_f32 v0, null, v81, v81, 0x3e48f136
	v_div_scale_f32 v3, vcc_lo, 0x3e48f136, v81, 0x3e48f136
	s_delay_alu instid0(VALU_DEP_2) | instskip(NEXT) | instid1(TRANS32_DEP_1)
	v_rcp_f32_e32 v1, v0
	v_fma_f32 v2, -v0, v1, 1.0
	s_delay_alu instid0(VALU_DEP_1) | instskip(NEXT) | instid1(VALU_DEP_1)
	v_fmac_f32_e32 v1, v2, v1
	v_mul_f32_e32 v2, v3, v1
	s_delay_alu instid0(VALU_DEP_1) | instskip(NEXT) | instid1(VALU_DEP_1)
	v_fma_f32 v4, -v0, v2, v3
	v_fmac_f32_e32 v2, v4, v1
	s_delay_alu instid0(VALU_DEP_1) | instskip(SKIP_1) | instid1(VALU_DEP_1)
	v_fma_f32 v0, -v0, v2, v3
	s_wait_alu 0xfffd
	v_div_fmas_f32 v0, v0, v1, v2
	v_div_scale_f32 v2, null, v81, v81, 0x3f490fdb
	s_delay_alu instid0(VALU_DEP_2) | instskip(NEXT) | instid1(VALU_DEP_2)
	v_div_fixup_f32 v0, v0, v81, 0x3e48f136
	v_rcp_f32_e32 v4, v2
	s_delay_alu instid0(VALU_DEP_1) | instskip(NEXT) | instid1(VALU_DEP_1)
	v_add_f32_e32 v0, 0xbefe708c, v0
	v_div_scale_f32 v1, null, v81, v81, v0
	s_delay_alu instid0(TRANS32_DEP_1) | instskip(SKIP_1) | instid1(VALU_DEP_3)
	v_fma_f32 v6, -v2, v4, 1.0
	v_div_scale_f32 v7, vcc_lo, v0, v81, v0
	v_rcp_f32_e32 v3, v1
	s_delay_alu instid0(VALU_DEP_2) | instskip(NEXT) | instid1(TRANS32_DEP_1)
	v_fmac_f32_e32 v4, v6, v4
	v_fma_f32 v5, -v1, v3, 1.0
	s_delay_alu instid0(VALU_DEP_1) | instskip(SKIP_1) | instid1(VALU_DEP_2)
	v_fmac_f32_e32 v3, v5, v3
	v_div_scale_f32 v5, s0, 0x3f490fdb, v81, 0x3f490fdb
	v_mul_f32_e32 v6, v7, v3
	s_delay_alu instid0(VALU_DEP_2) | instskip(NEXT) | instid1(VALU_DEP_2)
	v_mul_f32_e32 v82, v5, v4
	v_fma_f32 v83, -v1, v6, v7
	s_delay_alu instid0(VALU_DEP_2) | instskip(NEXT) | instid1(VALU_DEP_2)
	v_fma_f32 v84, -v2, v82, v5
	v_fmac_f32_e32 v6, v83, v3
	s_delay_alu instid0(VALU_DEP_2) | instskip(NEXT) | instid1(VALU_DEP_2)
	v_fmac_f32_e32 v82, v84, v4
	v_fma_f32 v1, -v1, v6, v7
	s_delay_alu instid0(VALU_DEP_2) | instskip(SKIP_1) | instid1(VALU_DEP_2)
	v_fma_f32 v2, -v2, v82, v5
	s_wait_alu 0xfffd
	v_div_fmas_f32 v1, v1, v3, v6
	s_mov_b32 vcc_lo, s0
	s_wait_alu 0xfffe
	v_div_fmas_f32 v2, v2, v4, v82
	s_delay_alu instid0(VALU_DEP_2) | instskip(NEXT) | instid1(VALU_DEP_2)
	v_div_fixup_f32 v0, v1, v81, v0
	v_div_fixup_f32 v2, v2, v81, 0x3f490fdb
	s_delay_alu instid0(VALU_DEP_1) | instskip(SKIP_2) | instid1(VALU_DEP_2)
	v_mul_f32_e32 v3, 0x4f800000, v2
	v_cmp_gt_f32_e32 vcc_lo, 0xf800000, v2
	s_wait_alu 0xfffd
	v_dual_cndmask_b32 v2, v2, v3 :: v_dual_mul_f32 v3, 0xbfb8aa3b, v81
	s_delay_alu instid0(VALU_DEP_1) | instskip(NEXT) | instid1(VALU_DEP_1)
	v_sqrt_f32_e32 v4, v2
	v_rndne_f32_e32 v5, v3
	v_fma_f32 v6, 0xbfb8aa3b, v81, -v3
	s_delay_alu instid0(VALU_DEP_1) | instskip(SKIP_1) | instid1(TRANS32_DEP_1)
	v_dual_sub_f32 v3, v3, v5 :: v_dual_fmamk_f32 v6, v81, 0xb2a5705f, v6
	v_cvt_i32_f32_e32 v5, v5
	v_add_nc_u32_e32 v7, -1, v4
	s_delay_alu instid0(VALU_DEP_3) | instskip(NEXT) | instid1(VALU_DEP_2)
	v_dual_add_f32 v3, v3, v6 :: v_dual_add_nc_u32 v6, 1, v4
	v_fma_f32 v82, -v7, v4, v2
	s_delay_alu instid0(VALU_DEP_2) | instskip(NEXT) | instid1(VALU_DEP_2)
	v_exp_f32_e32 v3, v3
	v_fma_f32 v83, -v6, v4, v2
	s_delay_alu instid0(VALU_DEP_2) | instskip(SKIP_2) | instid1(VALU_DEP_2)
	v_cmp_ge_f32_e64 s0, 0, v82
	v_add_f32_e32 v82, v81, v81
	s_wait_alu 0xf1ff
	v_cndmask_b32_e64 v4, v4, v7, s0
	v_cmp_lt_f32_e64 s0, 0, v83
	s_delay_alu instid0(TRANS32_DEP_1) | instskip(SKIP_1) | instid1(VALU_DEP_2)
	v_ldexp_f32 v3, v3, v5
	s_wait_alu 0xf1ff
	v_cndmask_b32_e64 v4, v4, v6, s0
	v_cmp_nlt_f32_e64 s0, 0x42ce8ed0, v81
	s_delay_alu instid0(VALU_DEP_2) | instskip(SKIP_1) | instid1(VALU_DEP_2)
	v_mul_f32_e32 v5, 0x37800000, v4
	s_wait_alu 0xf1ff
	v_cndmask_b32_e64 v3, 0, v3, s0
	s_mov_b32 s0, exec_lo
	s_delay_alu instid0(VALU_DEP_2)
	v_cndmask_b32_e32 v1, v4, v5, vcc_lo
	v_cmp_ngt_f32_e32 vcc_lo, 0xc2b17218, v81
	s_wait_alu 0xfffd
	v_cndmask_b32_e32 v7, 0x7f800000, v3, vcc_lo
	v_cmp_class_f32_e64 vcc_lo, v2, 0x260
	s_wait_alu 0xfffd
	v_dual_add_f32 v3, 0xb87c50a3, v0 :: v_dual_cndmask_b32 v0, v1, v2
	s_delay_alu instid0(VALU_DEP_1) | instskip(NEXT) | instid1(VALU_DEP_1)
	v_fmac_f32_e32 v0, v7, v3
	v_sub_f32_e32 v1, v0, v7
	s_delay_alu instid0(VALU_DEP_1) | instskip(NEXT) | instid1(VALU_DEP_1)
	v_div_scale_f32 v2, null, v82, v82, v1
	v_rcp_f32_e32 v3, v2
	s_delay_alu instid0(TRANS32_DEP_1) | instskip(NEXT) | instid1(VALU_DEP_1)
	v_fma_f32 v4, -v2, v3, 1.0
	v_fmac_f32_e32 v3, v4, v3
	v_div_scale_f32 v5, vcc_lo, v1, v82, v1
	s_delay_alu instid0(VALU_DEP_1) | instskip(NEXT) | instid1(VALU_DEP_1)
	v_mul_f32_e32 v4, v5, v3
	v_fma_f32 v6, -v2, v4, v5
	s_delay_alu instid0(VALU_DEP_1) | instskip(NEXT) | instid1(VALU_DEP_1)
	v_fmac_f32_e32 v4, v6, v3
	v_fma_f32 v2, -v2, v4, v5
                                        ; implicit-def: $vgpr5
	s_wait_alu 0xfffd
	s_delay_alu instid0(VALU_DEP_1) | instskip(NEXT) | instid1(VALU_DEP_1)
	v_div_fmas_f32 v2, v2, v3, v4
                                        ; implicit-def: $vgpr4
                                        ; implicit-def: $vgpr3
	v_div_fixup_f32 v6, v2, v82, v1
                                        ; implicit-def: $vgpr2
                                        ; implicit-def: $vgpr1
	v_cmpx_lt_i32_e32 0, v24
	s_wait_alu 0xfffe
	s_xor_b32 s12, exec_lo, s0
	s_cbranch_execz .LBB0_124
; %bb.113:
                                        ; implicit-def: $vgpr4
                                        ; implicit-def: $vgpr5
                                        ; implicit-def: $vgpr3
                                        ; implicit-def: $vgpr2
                                        ; implicit-def: $vgpr1
	s_mov_b32 s0, exec_lo
	v_cmpx_lt_i32_e32 1, v24
	s_wait_alu 0xfffe
	s_xor_b32 s13, exec_lo, s0
	s_cbranch_execz .LBB0_121
; %bb.114:
	v_dual_mov_b32 v4, 0 :: v_dual_mov_b32 v5, 0
	v_dual_mov_b32 v3, 0 :: v_dual_mov_b32 v2, 0
	v_mov_b32_e32 v1, 0
	s_mov_b32 s14, exec_lo
	v_cmpx_eq_u32_e32 2, v24
	s_cbranch_execz .LBB0_120
; %bb.115:
	v_add_f32_e32 v4, 0xbe42ba39, v81
	v_add_f32_e32 v3, 0xbfe46a42, v81
                                        ; implicit-def: $vgpr2
                                        ; implicit-def: $vgpr1
                                        ; implicit-def: $vgpr5
	s_mov_b32 s0, exec_lo
	v_cmpx_ngt_f32_e32 0x41a00000, v81
	s_wait_alu 0xfffe
	s_xor_b32 s15, exec_lo, s0
	s_cbranch_execz .LBB0_117
; %bb.116:
	v_div_scale_f32 v1, null, v81, v81, 0xc4251610
	v_div_scale_f32 v2, null, v4, v4, 0x3e42ba39
	;; [unrolled: 1-line block ×3, first 2 shown]
	s_delay_alu instid0(VALU_DEP_3) | instskip(NEXT) | instid1(VALU_DEP_2)
	v_rcp_f32_e32 v5, v1
	v_rcp_f32_e32 v84, v2
	v_div_scale_f32 v83, vcc_lo, 0xc4251610, v81, 0xc4251610
	s_delay_alu instid0(VALU_DEP_2) | instskip(SKIP_3) | instid1(TRANS32_DEP_3)
	v_rcp_f32_e32 v96, v85
	v_div_scale_f32 v86, s0, 0x3e42ba39, v4, 0x3e42ba39
	v_div_scale_f32 v99, null, v81, v81, 0xc663b5e1
	s_mov_b32 s2, 0xba026eca
	v_fma_f32 v87, -v1, v5, 1.0
	s_delay_alu instid0(TRANS32_DEP_2) | instskip(SKIP_1) | instid1(TRANS32_DEP_1)
	v_fma_f32 v98, -v2, v84, 1.0
	v_div_scale_f32 v97, s1, 0xc5c528bb, v81, 0xc5c528bb
	v_fma_f32 v100, -v85, v96, 1.0
	s_delay_alu instid0(VALU_DEP_3) | instskip(SKIP_4) | instid1(VALU_DEP_1)
	v_dual_fmac_f32 v5, v87, v5 :: v_dual_fmac_f32 v84, v98, v84
	v_div_scale_f32 v87, null, v3, v3, 0x3fe46a42
	s_mov_b32 s16, 0xbb92df54
	v_dual_mul_f32 v98, v83, v5 :: v_dual_mul_f32 v103, v86, v84
	v_rcp_f32_e32 v101, v87
	v_fma_f32 v112, -v1, v98, v83
	s_delay_alu instid0(VALU_DEP_2) | instskip(SKIP_1) | instid1(VALU_DEP_1)
	v_fma_f32 v113, -v2, v103, v86
	s_wait_alu 0xfffe
	v_dual_fmaak_f32 v102, s2, v81, 0xbd4d2e47 :: v_dual_fmac_f32 v103, v113, v84
	s_delay_alu instid0(TRANS32_DEP_1) | instskip(SKIP_2) | instid1(VALU_DEP_3)
	v_fma_f32 v114, -v87, v101, 1.0
	v_fmac_f32_e32 v96, v100, v96
	v_rcp_f32_e32 v100, v99
	v_fma_f32 v2, -v2, v103, v86
	s_delay_alu instid0(VALU_DEP_3) | instskip(NEXT) | instid1(TRANS32_DEP_1)
	v_fmac_f32_e32 v101, v114, v101
	v_fma_f32 v113, -v99, v100, 1.0
	s_delay_alu instid0(VALU_DEP_1) | instskip(SKIP_2) | instid1(VALU_DEP_2)
	v_fmac_f32_e32 v100, v113, v100
	v_fmac_f32_e32 v98, v112, v5
	v_mul_f32_e32 v112, v97, v96
	v_fma_f32 v1, -v1, v98, v83
	s_delay_alu instid0(VALU_DEP_2) | instskip(SKIP_1) | instid1(VALU_DEP_2)
	v_fma_f32 v83, -v85, v112, v97
	s_wait_alu 0xfffd
	v_div_fmas_f32 v1, v1, v5, v98
	v_div_scale_f32 v5, s2, 0x3fe46a42, v3, 0x3fe46a42
	v_div_scale_f32 v98, s3, 0xc663b5e1, v81, 0xc663b5e1
	v_fmaak_f32 v102, v81, v102, 0x3fa7ce91
	s_delay_alu instid0(VALU_DEP_3) | instskip(NEXT) | instid1(VALU_DEP_3)
	v_dual_fmac_f32 v112, v83, v96 :: v_dual_mul_f32 v83, v5, v101
	v_mul_f32_e32 v113, v98, v100
	v_div_fixup_f32 v1, v1, v81, 0xc4251610
	s_delay_alu instid0(VALU_DEP_4)
	v_fmaak_f32 v102, v81, v102, 0xc196ab4c
	v_fmaak_f32 v86, s16, v81, 0xbf047292
	s_mov_b32 vcc_lo, s0
	v_fma_f32 v85, -v85, v112, v97
	s_wait_alu 0xfffe
	v_div_fmas_f32 v2, v2, v84, v103
	v_fmac_f32_e32 v1, v81, v102
	v_fmaak_f32 v84, v81, v86, 0x4135e7dc
	v_fma_f32 v86, -v87, v83, v5
	v_fma_f32 v97, -v99, v113, v98
	s_mov_b32 vcc_lo, s1
	s_mov_b32 s0, 0xbc62b400
	s_wait_alu 0xfffe
	v_div_fmas_f32 v85, v85, v96, v112
	v_fmac_f32_e32 v83, v86, v101
	v_fmac_f32_e32 v113, v97, v100
	v_fmaak_f32 v84, v81, v84, 0xc3256d28
	s_mov_b32 vcc_lo, s2
	v_div_fixup_f32 v85, v85, v81, 0xc5c528bb
	v_fma_f32 v5, -v87, v83, v5
	v_fmaak_f32 v86, s0, v81, 0xbfe2ef83
	v_fma_f32 v87, -v99, v113, v98
	s_delay_alu instid0(VALU_DEP_4)
	v_fmac_f32_e32 v85, v81, v84
	s_wait_alu 0xfffe
	v_div_fmas_f32 v5, v5, v101, v83
	s_mov_b32 vcc_lo, s3
	v_fmaak_f32 v83, v81, v86, 0x418ae947
	s_wait_alu 0xfffe
	v_div_fmas_f32 v86, v87, v100, v113
	s_delay_alu instid0(VALU_DEP_1) | instskip(SKIP_4) | instid1(VALU_DEP_3)
	v_div_fixup_f32 v84, v86, v81, 0xc663b5e1
	v_add_f32_e32 v86, 0x4324ee74, v1
	v_div_fixup_f32 v1, v2, v4, 0x3e42ba39
	v_add_f32_e32 v4, 0x44be4a2a, v85
	v_div_fixup_f32 v2, v5, v3, 0x3fe46a42
                                        ; implicit-def: $vgpr3
	v_fmac_f32_e32 v1, v7, v86
	s_delay_alu instid0(VALU_DEP_2) | instskip(NEXT) | instid1(VALU_DEP_1)
	v_dual_fmac_f32 v2, v7, v4 :: v_dual_fmaak_f32 v83, v81, v83, 0xc3b2cebc
                                        ; implicit-def: $vgpr4
	v_fmac_f32_e32 v84, v81, v83
	s_delay_alu instid0(VALU_DEP_1)
	v_add_f32_e32 v5, 0x4528a517, v84
.LBB0_117:
	s_wait_alu 0xfffe
	s_and_not1_saveexec_b32 s2, s15
	s_cbranch_execz .LBB0_119
; %bb.118:
	v_div_scale_f32 v1, null, v81, v81, 0xc69a624f
	v_div_scale_f32 v83, vcc_lo, 0xc69a624f, v81, 0xc69a624f
	v_div_scale_f32 v87, s0, 0x3e42ba39, v4, 0x3e42ba39
	s_delay_alu instid0(VALU_DEP_3) | instskip(SKIP_1) | instid1(TRANS32_DEP_1)
	v_rcp_f32_e32 v2, v1
	v_div_scale_f32 v96, s1, 0xca32054d, v81, 0xca32054d
	v_fma_f32 v5, -v1, v2, 1.0
	s_delay_alu instid0(VALU_DEP_1) | instskip(NEXT) | instid1(VALU_DEP_1)
	v_fmac_f32_e32 v2, v5, v2
	v_mul_f32_e32 v5, v83, v2
	s_delay_alu instid0(VALU_DEP_1) | instskip(NEXT) | instid1(VALU_DEP_1)
	v_fma_f32 v84, -v1, v5, v83
	v_fmac_f32_e32 v5, v84, v2
	s_delay_alu instid0(VALU_DEP_1) | instskip(SKIP_2) | instid1(VALU_DEP_2)
	v_fma_f32 v1, -v1, v5, v83
	v_div_scale_f32 v83, null, v81, v81, 0xca32054d
	s_wait_alu 0xfffd
	v_div_fmas_f32 v1, v1, v2, v5
	v_div_scale_f32 v2, null, v4, v4, 0x3e42ba39
	s_delay_alu instid0(VALU_DEP_3) | instskip(NEXT) | instid1(VALU_DEP_2)
	v_rcp_f32_e32 v86, v83
	v_div_fixup_f32 v1, v1, v81, 0xc69a624f
	s_delay_alu instid0(VALU_DEP_2) | instskip(NEXT) | instid1(VALU_DEP_1)
	v_rcp_f32_e32 v85, v2
	v_add_f32_e32 v1, 0x461981a8, v1
	s_delay_alu instid0(TRANS32_DEP_2) | instskip(NEXT) | instid1(VALU_DEP_2)
	v_fma_f32 v99, -v83, v86, 1.0
	v_div_scale_f32 v5, null, v81, v81, v1
	s_delay_alu instid0(TRANS32_DEP_1) | instskip(SKIP_1) | instid1(VALU_DEP_3)
	v_fma_f32 v98, -v2, v85, 1.0
	v_div_scale_f32 v100, vcc_lo, v1, v81, v1
	v_rcp_f32_e32 v84, v5
	s_delay_alu instid0(VALU_DEP_2) | instskip(NEXT) | instid1(VALU_DEP_1)
	v_dual_fmac_f32 v86, v99, v86 :: v_dual_fmac_f32 v85, v98, v85
	v_dual_mul_f32 v99, v96, v86 :: v_dual_mul_f32 v98, v87, v85
	s_delay_alu instid0(TRANS32_DEP_1) | instskip(NEXT) | instid1(VALU_DEP_2)
	v_fma_f32 v97, -v5, v84, 1.0
	v_fma_f32 v103, -v83, v99, v96
	s_delay_alu instid0(VALU_DEP_3) | instskip(NEXT) | instid1(VALU_DEP_2)
	v_fma_f32 v102, -v2, v98, v87
	v_dual_fmac_f32 v84, v97, v84 :: v_dual_fmac_f32 v99, v103, v86
	s_delay_alu instid0(VALU_DEP_1) | instskip(NEXT) | instid1(VALU_DEP_2)
	v_dual_fmac_f32 v98, v102, v85 :: v_dual_mul_f32 v97, v100, v84
	v_fma_f32 v83, -v83, v99, v96
	s_delay_alu instid0(VALU_DEP_2) | instskip(NEXT) | instid1(VALU_DEP_3)
	v_fma_f32 v2, -v2, v98, v87
	v_fma_f32 v101, -v5, v97, v100
	s_delay_alu instid0(VALU_DEP_1) | instskip(NEXT) | instid1(VALU_DEP_1)
	v_fmac_f32_e32 v97, v101, v84
	v_fma_f32 v5, -v5, v97, v100
	s_wait_alu 0xfffd
	s_delay_alu instid0(VALU_DEP_1)
	v_div_fmas_f32 v5, v5, v84, v97
	s_mov_b32 vcc_lo, s0
	s_wait_alu 0xfffe
	v_div_fmas_f32 v2, v2, v85, v98
	s_mov_b32 vcc_lo, s1
	v_div_scale_f32 v98, s0, 0x3fe46a42, v3, 0x3fe46a42
	s_wait_alu 0xfffe
	v_div_fmas_f32 v83, v83, v86, v99
	v_div_scale_f32 v99, s1, 0xc8396161, v81, 0xc8396161
	v_div_fixup_f32 v1, v5, v81, v1
	s_delay_alu instid0(VALU_DEP_3) | instskip(NEXT) | instid1(VALU_DEP_1)
	v_div_fixup_f32 v83, v83, v81, 0xca32054d
	v_add_f32_e32 v83, 0x49ac46f8, v83
	s_delay_alu instid0(VALU_DEP_1) | instskip(SKIP_1) | instid1(VALU_DEP_2)
	v_div_scale_f32 v84, null, v81, v81, v83
	v_div_scale_f32 v87, vcc_lo, v83, v81, v83
	v_rcp_f32_e32 v85, v84
	s_delay_alu instid0(TRANS32_DEP_1) | instskip(NEXT) | instid1(VALU_DEP_1)
	v_fma_f32 v86, -v84, v85, 1.0
	v_fmac_f32_e32 v85, v86, v85
	s_delay_alu instid0(VALU_DEP_1) | instskip(NEXT) | instid1(VALU_DEP_1)
	v_mul_f32_e32 v86, v87, v85
	v_fma_f32 v96, -v84, v86, v87
	s_delay_alu instid0(VALU_DEP_1) | instskip(NEXT) | instid1(VALU_DEP_1)
	v_fmac_f32_e32 v86, v96, v85
	v_fma_f32 v84, -v84, v86, v87
	s_wait_alu 0xfffd
	s_delay_alu instid0(VALU_DEP_1) | instskip(SKIP_1) | instid1(VALU_DEP_1)
	v_div_fmas_f32 v84, v84, v85, v86
	v_div_scale_f32 v86, null, v81, v81, 0xc8396161
	v_rcp_f32_e32 v97, v86
	s_delay_alu instid0(TRANS32_DEP_1) | instskip(NEXT) | instid1(VALU_DEP_1)
	v_fma_f32 v102, -v86, v97, 1.0
	v_fmac_f32_e32 v97, v102, v97
	s_delay_alu instid0(VALU_DEP_1) | instskip(SKIP_2) | instid1(VALU_DEP_3)
	v_mul_f32_e32 v102, v99, v97
	v_div_fixup_f32 v83, v84, v81, v83
	v_div_scale_f32 v84, null, v3, v3, 0x3fe46a42
	v_fma_f32 v114, -v86, v102, v99
	s_delay_alu instid0(VALU_DEP_3) | instskip(NEXT) | instid1(VALU_DEP_3)
	v_add_f32_e32 v83, 0xc88e598b, v83
	v_rcp_f32_e32 v96, v84
	s_delay_alu instid0(VALU_DEP_2) | instskip(NEXT) | instid1(VALU_DEP_2)
	v_fmac_f32_e32 v102, v114, v97
	v_div_scale_f32 v85, null, v81, v81, v83
	v_div_scale_f32 v103, vcc_lo, v83, v81, v83
	s_delay_alu instid0(VALU_DEP_3) | instskip(NEXT) | instid1(VALU_DEP_3)
	v_fma_f32 v86, -v86, v102, v99
	v_rcp_f32_e32 v87, v85
	s_delay_alu instid0(TRANS32_DEP_2) | instskip(NEXT) | instid1(VALU_DEP_1)
	v_fma_f32 v101, -v84, v96, 1.0
	v_fmac_f32_e32 v96, v101, v96
	s_delay_alu instid0(TRANS32_DEP_1) | instskip(NEXT) | instid1(VALU_DEP_2)
	v_fma_f32 v100, -v85, v87, 1.0
	v_mul_f32_e32 v101, v98, v96
	s_delay_alu instid0(VALU_DEP_2) | instskip(NEXT) | instid1(VALU_DEP_2)
	v_fmac_f32_e32 v87, v100, v87
	v_fma_f32 v113, -v84, v101, v98
	s_delay_alu instid0(VALU_DEP_1) | instskip(NEXT) | instid1(VALU_DEP_1)
	v_dual_mul_f32 v100, v103, v87 :: v_dual_fmac_f32 v101, v113, v96
	v_fma_f32 v112, -v85, v100, v103
	s_delay_alu instid0(VALU_DEP_2) | instskip(NEXT) | instid1(VALU_DEP_2)
	v_fma_f32 v84, -v84, v101, v98
	v_fmac_f32_e32 v100, v112, v87
	s_delay_alu instid0(VALU_DEP_1) | instskip(SKIP_1) | instid1(VALU_DEP_1)
	v_fma_f32 v85, -v85, v100, v103
	s_wait_alu 0xfffd
	v_div_fmas_f32 v85, v85, v87, v100
	s_mov_b32 vcc_lo, s0
	s_mov_b32 s0, 0xb62341a3
	s_wait_alu 0xfffe
	v_div_fmas_f32 v84, v84, v96, v101
	s_mov_b32 vcc_lo, s1
	v_div_fixup_f32 v83, v85, v81, v83
	s_wait_alu 0xfffe
	v_div_fmas_f32 v86, v86, v97, v102
	s_delay_alu instid0(VALU_DEP_1) | instskip(NEXT) | instid1(VALU_DEP_1)
	v_div_fixup_f32 v86, v86, v81, 0xc8396161
	v_add_f32_e32 v86, 0x4747cdd7, v86
	s_delay_alu instid0(VALU_DEP_1) | instskip(NEXT) | instid1(VALU_DEP_1)
	v_div_scale_f32 v87, null, v81, v81, v86
	v_rcp_f32_e32 v96, v87
	s_delay_alu instid0(TRANS32_DEP_1) | instskip(SKIP_2) | instid1(VALU_DEP_2)
	v_fma_f32 v98, -v87, v96, 1.0
	v_fmaak_f32 v97, s0, v81, 0x39bba4b6
	s_mov_b32 s0, 0xb989b133
	v_fmac_f32_e32 v96, v98, v96
	v_div_scale_f32 v98, vcc_lo, v86, v81, v86
	s_delay_alu instid0(VALU_DEP_1) | instskip(NEXT) | instid1(VALU_DEP_1)
	v_dual_fmaak_f32 v97, v81, v97, 0xbcbfc8ef :: v_dual_mul_f32 v100, v98, v96
	v_fmaak_f32 v97, v81, v97, 0x3f480b7a
	s_delay_alu instid0(VALU_DEP_2)
	v_fma_f32 v101, -v87, v100, v98
	s_wait_alu 0xfffe
	v_fmaak_f32 v99, s0, v81, 0x3d0f0702
	s_mov_b32 s0, 0x38c36ca9
	v_fmaak_f32 v97, v81, v97, 0xc18a913f
	s_wait_alu 0xfffe
	v_fmaak_f32 v102, s0, v81, 0xbceb226e
	v_fmac_f32_e32 v100, v101, v96
	v_fmaak_f32 v99, v81, v99, 0xc045f9e0
	v_fmaak_f32 v97, v81, v97, 0x43738477
	s_delay_alu instid0(VALU_DEP_4) | instskip(NEXT) | instid1(VALU_DEP_4)
	v_fmaak_f32 v101, v81, v102, 0xbf4893b3
	v_fma_f32 v87, -v87, v100, v98
	s_delay_alu instid0(VALU_DEP_4) | instskip(NEXT) | instid1(VALU_DEP_3)
	v_fmaak_f32 v99, v81, v99, 0x42d61304
	v_fmaak_f32 v85, v81, v101, 0xc193789b
	s_wait_alu 0xfffd
	s_delay_alu instid0(VALU_DEP_3) | instskip(NEXT) | instid1(VALU_DEP_3)
	v_div_fmas_f32 v87, v87, v96, v100
	v_fmaak_f32 v5, v81, v99, 0xc513e98b
	s_delay_alu instid0(VALU_DEP_1) | instskip(SKIP_3) | instid1(VALU_DEP_3)
	v_fmac_f32_e32 v83, v81, v5
	v_fmac_f32_e32 v1, v81, v97
	v_fmaak_f32 v5, v81, v85, 0x43ca7f94
	v_div_fixup_f32 v85, v87, v81, v86
	v_add_f32_e32 v86, 0xc501fb4f, v1
	v_div_fixup_f32 v1, v2, v4, 0x3e42ba39
	v_add_f32_e32 v4, 0x4702f04a, v83
	v_div_fixup_f32 v2, v84, v3, 0x3fe46a42
	v_fmac_f32_e32 v85, v81, v5
	s_delay_alu instid0(VALU_DEP_4) | instskip(NEXT) | instid1(VALU_DEP_2)
	v_fmac_f32_e32 v1, v7, v86
	v_dual_fmac_f32 v2, v7, v4 :: v_dual_add_f32 v5, 0xc5d70baa, v85
.LBB0_119:
	s_wait_alu 0xfffe
	s_or_b32 exec_lo, exec_lo, s2
	v_fma_f32 v3, 2.0, v6, v6
	s_delay_alu instid0(VALU_DEP_1) | instskip(NEXT) | instid1(VALU_DEP_1)
	v_dual_sub_f32 v4, v3, v7 :: v_dual_add_f32 v3, 0xc0b0cf9e, v81
	v_div_scale_f32 v81, null, v82, v82, v4
	s_delay_alu instid0(VALU_DEP_2) | instskip(SKIP_1) | instid1(VALU_DEP_3)
	v_div_scale_f32 v83, null, v3, v3, 0x40b0cf9e
	v_div_scale_f32 v96, vcc_lo, v4, v82, v4
	v_rcp_f32_e32 v84, v81
	s_delay_alu instid0(VALU_DEP_2) | instskip(NEXT) | instid1(TRANS32_DEP_2)
	v_rcp_f32_e32 v85, v83
	v_fma_f32 v86, -v81, v84, 1.0
	s_delay_alu instid0(TRANS32_DEP_1) | instskip(NEXT) | instid1(VALU_DEP_1)
	v_fma_f32 v87, -v83, v85, 1.0
	v_dual_fmac_f32 v84, v86, v84 :: v_dual_fmac_f32 v85, v87, v85
	v_div_scale_f32 v86, s0, 0x40b0cf9e, v3, 0x40b0cf9e
	s_delay_alu instid0(VALU_DEP_2) | instskip(NEXT) | instid1(VALU_DEP_2)
	v_mul_f32_e32 v87, v96, v84
	v_mul_f32_e32 v97, v86, v85
	s_delay_alu instid0(VALU_DEP_2) | instskip(NEXT) | instid1(VALU_DEP_2)
	v_fma_f32 v98, -v81, v87, v96
	v_fma_f32 v99, -v83, v97, v86
	s_delay_alu instid0(VALU_DEP_2) | instskip(NEXT) | instid1(VALU_DEP_2)
	v_fmac_f32_e32 v87, v98, v84
	v_fmac_f32_e32 v97, v99, v85
	s_delay_alu instid0(VALU_DEP_2) | instskip(NEXT) | instid1(VALU_DEP_2)
	v_fma_f32 v81, -v81, v87, v96
	v_fma_f32 v83, -v83, v97, v86
	s_wait_alu 0xfffd
	s_delay_alu instid0(VALU_DEP_2) | instskip(SKIP_3) | instid1(VALU_DEP_2)
	v_div_fmas_f32 v81, v81, v84, v87
	s_mov_b32 vcc_lo, s0
	s_wait_alu 0xfffe
	v_div_fmas_f32 v83, v83, v85, v97
	v_div_fixup_f32 v4, v81, v82, v4
	s_delay_alu instid0(VALU_DEP_2) | instskip(SKIP_1) | instid1(VALU_DEP_2)
	v_div_fixup_f32 v3, v83, v3, 0x40b0cf9e
	v_add_f32_e32 v83, 1.0, v1
	v_fmac_f32_e32 v3, v7, v5
	s_delay_alu instid0(VALU_DEP_2) | instskip(SKIP_1) | instid1(VALU_DEP_3)
	v_div_scale_f32 v7, null, v83, v83, v1
	v_div_scale_f32 v99, vcc_lo, v1, v83, v1
	v_add_f32_e32 v84, 1.0, v3
	s_delay_alu instid0(VALU_DEP_3) | instskip(NEXT) | instid1(VALU_DEP_1)
	v_rcp_f32_e32 v86, v7
	v_div_scale_f32 v87, null, v84, v84, v3
	v_div_scale_f32 v102, s1, v3, v84, v3
	s_delay_alu instid0(VALU_DEP_2) | instskip(NEXT) | instid1(TRANS32_DEP_2)
	v_rcp_f32_e32 v97, v87
	v_fma_f32 v98, -v7, v86, 1.0
	s_delay_alu instid0(VALU_DEP_1) | instskip(NEXT) | instid1(TRANS32_DEP_1)
	v_fmac_f32_e32 v86, v98, v86
	v_fma_f32 v101, -v87, v97, 1.0
	s_delay_alu instid0(VALU_DEP_1) | instskip(NEXT) | instid1(VALU_DEP_1)
	v_fmac_f32_e32 v97, v101, v97
	v_dual_add_f32 v5, 1.0, v2 :: v_dual_mul_f32 v112, v102, v97
	s_delay_alu instid0(VALU_DEP_1) | instskip(SKIP_1) | instid1(VALU_DEP_2)
	v_div_scale_f32 v85, null, v5, v5, v2
	v_div_scale_f32 v98, s0, v2, v5, v2
	v_rcp_f32_e32 v96, v85
	s_delay_alu instid0(TRANS32_DEP_1) | instskip(NEXT) | instid1(VALU_DEP_1)
	v_fma_f32 v100, -v85, v96, 1.0
	v_fmac_f32_e32 v96, v100, v96
	v_mul_f32_e32 v100, v99, v86
	s_delay_alu instid0(VALU_DEP_1) | instskip(NEXT) | instid1(VALU_DEP_1)
	v_fma_f32 v103, -v7, v100, v99
	v_fmac_f32_e32 v100, v103, v86
	v_fma_f32 v103, -v87, v112, v102
	v_mul_f32_e32 v101, v98, v96
	s_delay_alu instid0(VALU_DEP_3) | instskip(NEXT) | instid1(VALU_DEP_3)
	v_fma_f32 v7, -v7, v100, v99
	v_fmac_f32_e32 v112, v103, v97
	s_delay_alu instid0(VALU_DEP_3) | instskip(SKIP_1) | instid1(VALU_DEP_3)
	v_fma_f32 v113, -v85, v101, v98
	s_wait_alu 0xfffd
	v_div_fmas_f32 v7, v7, v86, v100
	s_delay_alu instid0(VALU_DEP_3) | instskip(NEXT) | instid1(VALU_DEP_3)
	v_fma_f32 v86, -v87, v112, v102
	v_fmac_f32_e32 v101, v113, v96
	s_mov_b32 vcc_lo, s0
	s_delay_alu instid0(VALU_DEP_3) | instskip(NEXT) | instid1(VALU_DEP_2)
	v_div_fixup_f32 v7, v7, v83, v1
	v_fma_f32 v85, -v85, v101, v98
	s_delay_alu instid0(VALU_DEP_2) | instskip(SKIP_2) | instid1(VALU_DEP_3)
	v_fma_f32 v4, -v6, v7, v4
	v_fma_f32 v6, -v0, v7, v6
	s_wait_alu 0xfffe
	v_div_fmas_f32 v85, v85, v96, v101
	s_mov_b32 vcc_lo, s1
	s_wait_alu 0xfffe
	v_div_fmas_f32 v86, v86, v97, v112
	s_delay_alu instid0(VALU_DEP_2) | instskip(NEXT) | instid1(VALU_DEP_2)
	v_div_fixup_f32 v5, v85, v5, v2
	v_div_fixup_f32 v81, v86, v84, v3
	s_delay_alu instid0(VALU_DEP_2) | instskip(NEXT) | instid1(VALU_DEP_2)
	v_fma_f32 v84, -v5, v6, v4
	v_sub_f32_e32 v82, v81, v5
	v_sub_f32_e32 v83, v81, v7
	v_fma_f32 v4, v81, v6, -v4
	v_sub_f32_e32 v7, v5, v7
	s_delay_alu instid0(VALU_DEP_3) | instskip(NEXT) | instid1(VALU_DEP_1)
	v_mul_f32_e32 v83, v82, v83
	v_div_scale_f32 v6, null, v83, v83, v84
	s_delay_alu instid0(VALU_DEP_1) | instskip(NEXT) | instid1(TRANS32_DEP_1)
	v_rcp_f32_e32 v81, v6
	v_fma_f32 v85, -v6, v81, 1.0
	s_delay_alu instid0(VALU_DEP_1) | instskip(SKIP_1) | instid1(VALU_DEP_1)
	v_fmac_f32_e32 v81, v85, v81
	v_mul_f32_e32 v5, v7, v82
	v_div_scale_f32 v7, null, v5, v5, v4
	v_div_scale_f32 v85, s0, v4, v5, v4
	s_delay_alu instid0(VALU_DEP_2) | instskip(NEXT) | instid1(TRANS32_DEP_1)
	v_rcp_f32_e32 v82, v7
	v_fma_f32 v86, -v7, v82, 1.0
	s_delay_alu instid0(VALU_DEP_1) | instskip(NEXT) | instid1(VALU_DEP_1)
	v_fmac_f32_e32 v82, v86, v82
	v_mul_f32_e32 v96, v85, v82
	v_div_scale_f32 v87, vcc_lo, v84, v83, v84
	s_delay_alu instid0(VALU_DEP_2) | instskip(NEXT) | instid1(VALU_DEP_2)
	v_fma_f32 v98, -v7, v96, v85
	v_mul_f32_e32 v86, v87, v81
	s_delay_alu instid0(VALU_DEP_2) | instskip(NEXT) | instid1(VALU_DEP_2)
	v_fmac_f32_e32 v96, v98, v82
	v_fma_f32 v97, -v6, v86, v87
	s_delay_alu instid0(VALU_DEP_2) | instskip(NEXT) | instid1(VALU_DEP_2)
	v_fma_f32 v7, -v7, v96, v85
	v_fmac_f32_e32 v86, v97, v81
	s_delay_alu instid0(VALU_DEP_1) | instskip(SKIP_1) | instid1(VALU_DEP_1)
	v_fma_f32 v6, -v6, v86, v87
	s_wait_alu 0xfffd
	v_div_fmas_f32 v6, v6, v81, v86
	s_mov_b32 vcc_lo, s0
	s_wait_alu 0xfffe
	v_div_fmas_f32 v7, v7, v82, v96
	s_delay_alu instid0(VALU_DEP_1) | instskip(SKIP_1) | instid1(VALU_DEP_2)
	v_div_fixup_f32 v5, v7, v5, v4
	v_div_fixup_f32 v4, v6, v83, v84
	v_sub_f32_e32 v0, v0, v5
	s_delay_alu instid0(VALU_DEP_1)
	v_sub_f32_e32 v0, v0, v4
.LBB0_120:
	s_wait_alu 0xfffe
	s_or_b32 exec_lo, exec_lo, s14
                                        ; implicit-def: $vgpr81
                                        ; implicit-def: $vgpr7
                                        ; implicit-def: $vgpr6
.LBB0_121:
	s_wait_alu 0xfffe
	s_and_not1_saveexec_b32 s2, s13
	s_cbranch_execz .LBB0_123
; %bb.122:
	v_div_scale_f32 v1, null, v81, v81, 0xc23e4bfd
	v_div_scale_f32 v4, vcc_lo, 0xc23e4bfd, v81, 0xc23e4bfd
	v_div_scale_f32 v85, s0, 0xc307d4bd, v81, 0xc307d4bd
	s_delay_alu instid0(VALU_DEP_3) | instskip(NEXT) | instid1(TRANS32_DEP_1)
	v_rcp_f32_e32 v2, v1
	v_fma_f32 v3, -v1, v2, 1.0
	s_delay_alu instid0(VALU_DEP_1) | instskip(NEXT) | instid1(VALU_DEP_1)
	v_fmac_f32_e32 v2, v3, v2
	v_mul_f32_e32 v3, v4, v2
	s_delay_alu instid0(VALU_DEP_1) | instskip(NEXT) | instid1(VALU_DEP_1)
	v_fma_f32 v5, -v1, v3, v4
	v_fmac_f32_e32 v3, v5, v2
	s_delay_alu instid0(VALU_DEP_1) | instskip(SKIP_1) | instid1(VALU_DEP_1)
	v_fma_f32 v1, -v1, v3, v4
	s_wait_alu 0xfffd
	v_div_fmas_f32 v1, v1, v2, v3
	v_add_f32_e32 v2, 0xbe8cee3d, v81
	v_div_scale_f32 v3, null, v81, v81, 0xc307d4bd
	s_delay_alu instid0(VALU_DEP_3) | instskip(NEXT) | instid1(VALU_DEP_3)
	v_div_fixup_f32 v1, v1, v81, 0xc23e4bfd
	v_div_scale_f32 v5, null, v2, v2, 0x3e8cee3d
	s_delay_alu instid0(VALU_DEP_3) | instskip(SKIP_1) | instid1(VALU_DEP_3)
	v_rcp_f32_e32 v83, v3
	v_div_scale_f32 v86, s1, 0x3e8cee3d, v2, 0x3e8cee3d
	v_add_f32_e32 v1, 0x41135c5f, v1
	s_delay_alu instid0(VALU_DEP_3) | instskip(NEXT) | instid1(VALU_DEP_1)
	v_rcp_f32_e32 v84, v5
	v_div_scale_f32 v4, null, v81, v81, v1
	s_delay_alu instid0(TRANS32_DEP_2) | instskip(SKIP_1) | instid1(VALU_DEP_3)
	v_fma_f32 v96, -v3, v83, 1.0
	v_div_scale_f32 v98, vcc_lo, v1, v81, v1
	v_rcp_f32_e32 v82, v4
	s_delay_alu instid0(TRANS32_DEP_2) | instskip(NEXT) | instid1(VALU_DEP_3)
	v_fma_f32 v97, -v5, v84, 1.0
	v_fmac_f32_e32 v83, v96, v83
	s_delay_alu instid0(TRANS32_DEP_1) | instskip(NEXT) | instid1(VALU_DEP_1)
	v_fma_f32 v87, -v4, v82, 1.0
	v_fmac_f32_e32 v82, v87, v82
	s_delay_alu instid0(VALU_DEP_1) | instskip(NEXT) | instid1(VALU_DEP_1)
	v_dual_fmac_f32 v84, v97, v84 :: v_dual_mul_f32 v87, v98, v82
	v_dual_mul_f32 v96, v85, v83 :: v_dual_mul_f32 v97, v86, v84
	s_delay_alu instid0(VALU_DEP_2) | instskip(NEXT) | instid1(VALU_DEP_2)
	v_fma_f32 v99, -v4, v87, v98
	v_fma_f32 v100, -v3, v96, v85
	s_delay_alu instid0(VALU_DEP_3) | instskip(NEXT) | instid1(VALU_DEP_2)
	v_fma_f32 v101, -v5, v97, v86
	v_dual_fmac_f32 v87, v99, v82 :: v_dual_fmac_f32 v96, v100, v83
	s_delay_alu instid0(VALU_DEP_2) | instskip(NEXT) | instid1(VALU_DEP_2)
	v_fmac_f32_e32 v97, v101, v84
	v_fma_f32 v4, -v4, v87, v98
	s_delay_alu instid0(VALU_DEP_3) | instskip(NEXT) | instid1(VALU_DEP_3)
	v_fma_f32 v3, -v3, v96, v85
	v_fma_f32 v5, -v5, v97, v86
	s_wait_alu 0xfffd
	s_delay_alu instid0(VALU_DEP_3)
	v_div_fmas_f32 v4, v4, v82, v87
	s_mov_b32 vcc_lo, s1
	s_mov_b32 s1, 0xb59a3989
	s_wait_alu 0xfffe
	v_div_fmas_f32 v5, v5, v84, v97
	s_mov_b32 vcc_lo, s0
	v_div_fixup_f32 v4, v4, v81, v1
	s_wait_alu 0xfffe
	v_div_fmas_f32 v3, v3, v83, v96
	v_add_f32_e32 v83, 0xc02e6238, v81
	v_fmaak_f32 v99, s1, v81, 0x39388d8e
	s_mov_b32 s1, 0x39bf52f4
	s_delay_alu instid0(VALU_DEP_3) | instskip(NEXT) | instid1(VALU_DEP_3)
	v_div_fixup_f32 v3, v3, v81, 0xc307d4bd
	v_div_scale_f32 v85, null, v83, v83, 0x402e6238
	v_div_scale_f32 v98, s0, 0x402e6238, v83, 0x402e6238
	s_delay_alu instid0(VALU_DEP_3) | instskip(NEXT) | instid1(VALU_DEP_3)
	v_add_f32_e32 v3, 0xc2ad60db, v3
	v_rcp_f32_e32 v86, v85
	s_wait_alu 0xfffe
	v_fmaak_f32 v101, s1, v81, 0xbdc708fb
	s_delay_alu instid0(VALU_DEP_2) | instskip(NEXT) | instid1(VALU_DEP_2)
	v_div_scale_f32 v82, null, v81, v81, v3
	v_fmaak_f32 v1, v81, v101, 0xc080ec6f
	s_delay_alu instid0(VALU_DEP_2) | instskip(NEXT) | instid1(TRANS32_DEP_1)
	v_rcp_f32_e32 v84, v82
	v_fma_f32 v87, -v82, v84, 1.0
	s_delay_alu instid0(VALU_DEP_1) | instskip(NEXT) | instid1(TRANS32_DEP_2)
	v_fmac_f32_e32 v84, v87, v84
	v_fma_f32 v87, -v85, v86, 1.0
	v_div_scale_f32 v96, vcc_lo, v3, v81, v3
	s_delay_alu instid0(VALU_DEP_2) | instskip(NEXT) | instid1(VALU_DEP_1)
	v_fmac_f32_e32 v86, v87, v86
	v_dual_mul_f32 v100, v98, v86 :: v_dual_mul_f32 v97, v96, v84
	s_delay_alu instid0(VALU_DEP_1) | instskip(NEXT) | instid1(VALU_DEP_1)
	v_fma_f32 v87, -v82, v97, v96
	v_fmac_f32_e32 v97, v87, v84
	v_fmaak_f32 v87, v81, v99, 0xbc8ce3aa
	s_delay_alu instid0(VALU_DEP_4) | instskip(NEXT) | instid1(VALU_DEP_3)
	v_fma_f32 v99, -v85, v100, v98
	v_fma_f32 v82, -v82, v97, v96
	s_delay_alu instid0(VALU_DEP_2) | instskip(SKIP_1) | instid1(VALU_DEP_2)
	v_dual_fmaak_f32 v87, v81, v87, 0xbe0c9671 :: v_dual_fmac_f32 v100, v99, v86
	s_wait_alu 0xfffd
	v_div_fmas_f32 v82, v82, v84, v97
	s_mov_b32 vcc_lo, s0
	s_delay_alu instid0(VALU_DEP_2) | instskip(SKIP_1) | instid1(VALU_DEP_3)
	v_fma_f32 v84, -v85, v100, v98
	v_fmac_f32_e32 v4, v81, v87
	v_div_fixup_f32 v3, v82, v81, v3
	s_wait_alu 0xfffe
	s_delay_alu instid0(VALU_DEP_3) | instskip(NEXT) | instid1(VALU_DEP_2)
	v_div_fmas_f32 v82, v84, v86, v100
	v_dual_add_f32 v4, 0xbcbd4d2c, v4 :: v_dual_fmac_f32 v3, v81, v1
	v_div_fixup_f32 v1, v5, v2, 0x3e8cee3d
	s_delay_alu instid0(VALU_DEP_3) | instskip(SKIP_1) | instid1(VALU_DEP_4)
	v_div_fixup_f32 v2, v82, v83, 0x402e6238
	v_sub_f32_e32 v5, v6, v0
	v_add_f32_e32 v3, 0x403eba2b, v3
	s_delay_alu instid0(VALU_DEP_4) | instskip(NEXT) | instid1(VALU_DEP_2)
	v_fmac_f32_e32 v1, v7, v4
	v_fmac_f32_e32 v2, v7, v3
	s_delay_alu instid0(VALU_DEP_1) | instskip(NEXT) | instid1(VALU_DEP_1)
	v_dual_fmac_f32 v6, v5, v1 :: v_dual_add_f32 v3, 1.0, v2
	v_dual_sub_f32 v4, v2, v1 :: v_dual_mul_f32 v3, v3, v6
	s_delay_alu instid0(VALU_DEP_1) | instskip(SKIP_1) | instid1(VALU_DEP_2)
	v_div_scale_f32 v5, null, v4, v4, v3
	v_div_scale_f32 v81, vcc_lo, v3, v4, v3
	v_rcp_f32_e32 v6, v5
	s_delay_alu instid0(TRANS32_DEP_1) | instskip(NEXT) | instid1(VALU_DEP_1)
	v_fma_f32 v7, -v5, v6, 1.0
	v_fmac_f32_e32 v6, v7, v6
	s_delay_alu instid0(VALU_DEP_1) | instskip(NEXT) | instid1(VALU_DEP_1)
	v_mul_f32_e32 v7, v81, v6
	v_fma_f32 v82, -v5, v7, v81
	s_delay_alu instid0(VALU_DEP_1) | instskip(NEXT) | instid1(VALU_DEP_1)
	v_fmac_f32_e32 v7, v82, v6
	v_fma_f32 v5, -v5, v7, v81
	s_wait_alu 0xfffd
	s_delay_alu instid0(VALU_DEP_1) | instskip(NEXT) | instid1(VALU_DEP_1)
	v_div_fmas_f32 v5, v5, v6, v7
	v_div_fixup_f32 v5, v5, v4, v3
	v_dual_mov_b32 v4, 0 :: v_dual_mov_b32 v3, 0
	s_delay_alu instid0(VALU_DEP_2)
	v_sub_f32_e32 v0, v0, v5
.LBB0_123:
	s_wait_alu 0xfffe
	s_or_b32 exec_lo, exec_lo, s2
                                        ; implicit-def: $vgpr6
.LBB0_124:
	s_wait_alu 0xfffe
	s_and_not1_saveexec_b32 s0, s12
	s_cbranch_execz .LBB0_128
; %bb.125:
	v_dual_mov_b32 v4, 0 :: v_dual_mov_b32 v1, 0
	s_mov_b32 s1, exec_lo
	v_cmpx_eq_u32_e32 0, v24
	s_cbranch_execz .LBB0_127
; %bb.126:
	v_sub_f32_e32 v1, v0, v6
	s_delay_alu instid0(VALU_DEP_1) | instskip(NEXT) | instid1(VALU_DEP_1)
	v_div_scale_f32 v2, null, v1, v1, v6
	v_rcp_f32_e32 v3, v2
	s_delay_alu instid0(TRANS32_DEP_1) | instskip(NEXT) | instid1(VALU_DEP_1)
	v_fma_f32 v5, -v2, v3, 1.0
	v_fmac_f32_e32 v3, v5, v3
	v_div_scale_f32 v5, vcc_lo, v6, v1, v6
	s_delay_alu instid0(VALU_DEP_1) | instskip(NEXT) | instid1(VALU_DEP_1)
	v_mul_f32_e32 v7, v5, v3
	v_fma_f32 v81, -v2, v7, v5
	s_delay_alu instid0(VALU_DEP_1) | instskip(NEXT) | instid1(VALU_DEP_1)
	v_fmac_f32_e32 v7, v81, v3
	v_fma_f32 v2, -v2, v7, v5
	s_wait_alu 0xfffd
	s_delay_alu instid0(VALU_DEP_1) | instskip(NEXT) | instid1(VALU_DEP_1)
	v_div_fmas_f32 v2, v2, v3, v7
	v_div_fixup_f32 v1, v2, v1, v6
.LBB0_127:
	s_wait_alu 0xfffe
	s_or_b32 exec_lo, exec_lo, s1
	v_dual_mov_b32 v5, 0 :: v_dual_mov_b32 v2, 0
	v_mov_b32_e32 v3, 0
.LBB0_128:
	s_wait_alu 0xfffe
	s_or_b32 exec_lo, exec_lo, s0
.LBB0_129:
	s_wait_alu 0xfffe
	s_or_b32 exec_lo, exec_lo, s11
                                        ; implicit-def: $vgpr81
.LBB0_130:
	s_wait_alu 0xfffe
	s_and_not1_saveexec_b32 s3, s10
	s_cbranch_execz .LBB0_144
; %bb.131:
	v_div_scale_f32 v0, null, v81, v81, 0xbe405aee
	v_div_scale_f32 v3, vcc_lo, 0xbe405aee, v81, 0xbe405aee
	s_delay_alu instid0(VALU_DEP_2) | instskip(NEXT) | instid1(TRANS32_DEP_1)
	v_rcp_f32_e32 v1, v0
	v_fma_f32 v2, -v0, v1, 1.0
	s_delay_alu instid0(VALU_DEP_1) | instskip(NEXT) | instid1(VALU_DEP_1)
	v_fmac_f32_e32 v1, v2, v1
	v_mul_f32_e32 v2, v3, v1
	s_delay_alu instid0(VALU_DEP_1) | instskip(NEXT) | instid1(VALU_DEP_1)
	v_fma_f32 v4, -v0, v2, v3
	v_fmac_f32_e32 v2, v4, v1
	s_delay_alu instid0(VALU_DEP_1) | instskip(SKIP_1) | instid1(VALU_DEP_1)
	v_fma_f32 v0, -v0, v2, v3
	s_wait_alu 0xfffd
	v_div_fmas_f32 v0, v0, v1, v2
	s_delay_alu instid0(VALU_DEP_1) | instskip(NEXT) | instid1(VALU_DEP_1)
	v_div_fixup_f32 v0, v0, v81, 0xbe405aee
	v_add_f32_e32 v0, 0x3e6b6fc1, v0
	s_delay_alu instid0(VALU_DEP_1) | instskip(SKIP_1) | instid1(VALU_DEP_2)
	v_div_scale_f32 v1, null, v81, v81, v0
	v_div_scale_f32 v4, vcc_lo, v0, v81, v0
	v_rcp_f32_e32 v2, v1
	s_delay_alu instid0(TRANS32_DEP_1) | instskip(NEXT) | instid1(VALU_DEP_1)
	v_fma_f32 v3, -v1, v2, 1.0
	v_fmac_f32_e32 v2, v3, v2
	s_delay_alu instid0(VALU_DEP_1) | instskip(NEXT) | instid1(VALU_DEP_1)
	v_mul_f32_e32 v3, v4, v2
	v_fma_f32 v5, -v1, v3, v4
	s_delay_alu instid0(VALU_DEP_1) | instskip(NEXT) | instid1(VALU_DEP_1)
	v_fmac_f32_e32 v3, v5, v2
	v_fma_f32 v1, -v1, v3, v4
	s_wait_alu 0xfffd
	s_delay_alu instid0(VALU_DEP_1) | instskip(SKIP_1) | instid1(VALU_DEP_2)
	v_div_fmas_f32 v1, v1, v2, v3
	v_div_scale_f32 v2, null, v81, v81, 0x3f490fdb
	v_div_fixup_f32 v0, v1, v81, v0
	s_delay_alu instid0(VALU_DEP_2) | instskip(NEXT) | instid1(VALU_DEP_1)
	v_rcp_f32_e32 v4, v2
	v_add_f32_e32 v0, 0xbeff74bd, v0
	s_delay_alu instid0(VALU_DEP_1) | instskip(NEXT) | instid1(TRANS32_DEP_1)
	v_div_scale_f32 v1, null, v81, v81, v0
	v_fma_f32 v6, -v2, v4, 1.0
	v_div_scale_f32 v7, vcc_lo, v0, v81, v0
	s_delay_alu instid0(VALU_DEP_3) | instskip(NEXT) | instid1(VALU_DEP_2)
	v_rcp_f32_e32 v3, v1
	v_fmac_f32_e32 v4, v6, v4
	s_delay_alu instid0(TRANS32_DEP_1) | instskip(NEXT) | instid1(VALU_DEP_1)
	v_fma_f32 v5, -v1, v3, 1.0
	v_fmac_f32_e32 v3, v5, v3
	v_div_scale_f32 v5, s0, 0x3f490fdb, v81, 0x3f490fdb
	s_delay_alu instid0(VALU_DEP_2) | instskip(NEXT) | instid1(VALU_DEP_2)
	v_mul_f32_e32 v6, v7, v3
	v_mul_f32_e32 v82, v5, v4
	s_delay_alu instid0(VALU_DEP_2) | instskip(NEXT) | instid1(VALU_DEP_2)
	v_fma_f32 v83, -v1, v6, v7
	v_fma_f32 v84, -v2, v82, v5
	s_delay_alu instid0(VALU_DEP_2) | instskip(NEXT) | instid1(VALU_DEP_2)
	v_fmac_f32_e32 v6, v83, v3
	v_fmac_f32_e32 v82, v84, v4
	s_delay_alu instid0(VALU_DEP_2) | instskip(NEXT) | instid1(VALU_DEP_2)
	v_fma_f32 v1, -v1, v6, v7
	v_fma_f32 v2, -v2, v82, v5
	s_wait_alu 0xfffd
	s_delay_alu instid0(VALU_DEP_2) | instskip(SKIP_3) | instid1(VALU_DEP_2)
	v_div_fmas_f32 v1, v1, v3, v6
	s_mov_b32 vcc_lo, s0
	s_wait_alu 0xfffe
	v_div_fmas_f32 v2, v2, v4, v82
	v_div_fixup_f32 v0, v1, v81, v0
	s_delay_alu instid0(VALU_DEP_2) | instskip(NEXT) | instid1(VALU_DEP_1)
	v_div_fixup_f32 v2, v2, v81, 0x3f490fdb
	v_mul_f32_e32 v3, 0x4f800000, v2
	v_cmp_gt_f32_e32 vcc_lo, 0xf800000, v2
	s_wait_alu 0xfffd
	s_delay_alu instid0(VALU_DEP_2) | instskip(NEXT) | instid1(VALU_DEP_1)
	v_dual_cndmask_b32 v2, v2, v3 :: v_dual_mul_f32 v3, 0xbfb8aa3b, v81
	v_sqrt_f32_e32 v4, v2
	s_delay_alu instid0(VALU_DEP_1) | instskip(SKIP_1) | instid1(VALU_DEP_1)
	v_rndne_f32_e32 v5, v3
	v_fma_f32 v6, 0xbfb8aa3b, v81, -v3
	v_dual_sub_f32 v3, v3, v5 :: v_dual_fmamk_f32 v6, v81, 0xb2a5705f, v6
	v_cvt_i32_f32_e32 v5, v5
	s_delay_alu instid0(TRANS32_DEP_1) | instskip(NEXT) | instid1(VALU_DEP_3)
	v_add_nc_u32_e32 v7, -1, v4
	v_dual_add_f32 v3, v3, v6 :: v_dual_add_nc_u32 v6, 1, v4
	s_delay_alu instid0(VALU_DEP_2) | instskip(NEXT) | instid1(VALU_DEP_2)
	v_fma_f32 v82, -v7, v4, v2
	v_exp_f32_e32 v3, v3
	s_delay_alu instid0(VALU_DEP_2) | instskip(NEXT) | instid1(VALU_DEP_2)
	v_fma_f32 v83, -v6, v4, v2
	v_cmp_ge_f32_e64 s0, 0, v82
	v_add_f32_e32 v82, v81, v81
	s_wait_alu 0xf1ff
	s_delay_alu instid0(VALU_DEP_2) | instskip(SKIP_1) | instid1(TRANS32_DEP_1)
	v_cndmask_b32_e64 v4, v4, v7, s0
	v_cmp_lt_f32_e64 s0, 0, v83
	v_ldexp_f32 v3, v3, v5
	s_wait_alu 0xf1ff
	s_delay_alu instid0(VALU_DEP_2) | instskip(SKIP_1) | instid1(VALU_DEP_2)
	v_cndmask_b32_e64 v4, v4, v6, s0
	v_cmp_nlt_f32_e64 s0, 0x42ce8ed0, v81
	v_mul_f32_e32 v5, 0x37800000, v4
	s_wait_alu 0xf1ff
	s_delay_alu instid0(VALU_DEP_2) | instskip(SKIP_1) | instid1(VALU_DEP_2)
	v_cndmask_b32_e64 v3, 0, v3, s0
	s_mov_b32 s0, exec_lo
	v_cndmask_b32_e32 v1, v4, v5, vcc_lo
	v_cmp_ngt_f32_e32 vcc_lo, 0xc2b17218, v81
	s_wait_alu 0xfffd
	v_cndmask_b32_e32 v7, 0x7f800000, v3, vcc_lo
	v_cmp_class_f32_e64 vcc_lo, v2, 0x260
	s_wait_alu 0xfffd
	v_dual_add_f32 v3, 0xb7b7d95a, v0 :: v_dual_cndmask_b32 v0, v1, v2
	s_delay_alu instid0(VALU_DEP_1) | instskip(NEXT) | instid1(VALU_DEP_1)
	v_fmac_f32_e32 v0, v7, v3
	v_sub_f32_e32 v1, v0, v7
	s_delay_alu instid0(VALU_DEP_1) | instskip(NEXT) | instid1(VALU_DEP_1)
	v_div_scale_f32 v2, null, v82, v82, v1
	v_rcp_f32_e32 v3, v2
	s_delay_alu instid0(TRANS32_DEP_1) | instskip(NEXT) | instid1(VALU_DEP_1)
	v_fma_f32 v4, -v2, v3, 1.0
	v_fmac_f32_e32 v3, v4, v3
	v_div_scale_f32 v5, vcc_lo, v1, v82, v1
	s_delay_alu instid0(VALU_DEP_1) | instskip(NEXT) | instid1(VALU_DEP_1)
	v_mul_f32_e32 v4, v5, v3
	v_fma_f32 v6, -v2, v4, v5
	s_delay_alu instid0(VALU_DEP_1) | instskip(NEXT) | instid1(VALU_DEP_1)
	v_fmac_f32_e32 v4, v6, v3
	v_fma_f32 v2, -v2, v4, v5
                                        ; implicit-def: $vgpr5
	s_wait_alu 0xfffd
	s_delay_alu instid0(VALU_DEP_1) | instskip(NEXT) | instid1(VALU_DEP_1)
	v_div_fmas_f32 v2, v2, v3, v4
                                        ; implicit-def: $vgpr4
                                        ; implicit-def: $vgpr3
	v_div_fixup_f32 v6, v2, v82, v1
                                        ; implicit-def: $vgpr2
                                        ; implicit-def: $vgpr1
	v_cmpx_lt_i32_e32 0, v24
	s_wait_alu 0xfffe
	s_xor_b32 s10, exec_lo, s0
	s_cbranch_execz .LBB0_139
; %bb.132:
                                        ; implicit-def: $vgpr4
                                        ; implicit-def: $vgpr5
                                        ; implicit-def: $vgpr3
                                        ; implicit-def: $vgpr2
                                        ; implicit-def: $vgpr1
	s_mov_b32 s0, exec_lo
	v_cmpx_lt_i32_e32 1, v24
	s_wait_alu 0xfffe
	s_xor_b32 s11, exec_lo, s0
	s_cbranch_execz .LBB0_136
; %bb.133:
	v_dual_mov_b32 v4, 0 :: v_dual_mov_b32 v5, 0
	v_dual_mov_b32 v3, 0 :: v_dual_mov_b32 v2, 0
	v_mov_b32_e32 v1, 0
	s_mov_b32 s12, exec_lo
	v_cmpx_eq_u32_e32 2, v24
	s_cbranch_execz .LBB0_135
; %bb.134:
	v_add_f32_e32 v3, 0xc1480000, v81
	s_mov_b32 s0, 0x25fedf51
	v_fma_f32 v5, 2.0, v6, v6
	s_mov_b32 s1, 0x27670864
	s_wait_alu 0xfffe
	v_fmaak_f32 v1, s0, v3, 0xa747bc7d
	s_mov_b32 s0, 0x27f6d9a2
	v_sub_f32_e32 v5, v5, v7
	s_delay_alu instid0(VALU_DEP_2) | instskip(NEXT) | instid1(VALU_DEP_2)
	v_fmaak_f32 v1, v3, v1, 0xa937ed9d
	v_div_scale_f32 v7, null, v82, v82, v5
	v_div_scale_f32 v87, vcc_lo, v5, v82, v5
	s_delay_alu instid0(VALU_DEP_3) | instskip(NEXT) | instid1(VALU_DEP_3)
	v_fmaak_f32 v1, v3, v1, 0x2b176e28
	v_rcp_f32_e32 v81, v7
	s_delay_alu instid0(VALU_DEP_1) | instskip(NEXT) | instid1(VALU_DEP_1)
	v_fmaak_f32 v1, v3, v1, 0x2c0470c6
	v_fmaak_f32 v1, v3, v1, 0xaebeb7e0
	s_delay_alu instid0(TRANS32_DEP_1) | instskip(NEXT) | instid1(VALU_DEP_2)
	v_fma_f32 v84, -v7, v81, 1.0
	v_fmaak_f32 v1, v3, v1, 0x30438a61
	s_delay_alu instid0(VALU_DEP_2) | instskip(NEXT) | instid1(VALU_DEP_2)
	v_fmac_f32_e32 v81, v84, v81
	v_fmaak_f32 v1, v3, v1, 0xb17459f3
	s_delay_alu instid0(VALU_DEP_2) | instskip(NEXT) | instid1(VALU_DEP_2)
	v_mul_f32_e32 v99, v87, v81
	v_fmaak_f32 v1, v3, v1, 0x340b003d
	s_delay_alu instid0(VALU_DEP_2) | instskip(NEXT) | instid1(VALU_DEP_2)
	v_fma_f32 v101, -v7, v99, v87
	v_fmaak_f32 v1, v3, v1, 0xb68afd6b
	s_delay_alu instid0(VALU_DEP_2) | instskip(NEXT) | instid1(VALU_DEP_2)
	v_fmac_f32_e32 v99, v101, v81
	v_fmaak_f32 v1, v3, v1, 0x38a8b361
	s_delay_alu instid0(VALU_DEP_2) | instskip(NEXT) | instid1(VALU_DEP_2)
	v_fma_f32 v7, -v7, v99, v87
	v_fmaak_f32 v1, v3, v1, 0xba9b6f75
	s_wait_alu 0xfffd
	s_delay_alu instid0(VALU_DEP_2) | instskip(NEXT) | instid1(VALU_DEP_2)
	v_div_fmas_f32 v7, v7, v81, v99
	v_fmaak_f32 v1, v3, v1, 0x3c7b638c
	s_wait_alu 0xfffe
	v_fmaak_f32 v2, s0, v3, 0xa8430508
	s_delay_alu instid0(VALU_DEP_3) | instskip(NEXT) | instid1(VALU_DEP_2)
	v_div_fixup_f32 v5, v7, v82, v5
	v_dual_add_f32 v83, 1.0, v1 :: v_dual_fmaak_f32 v2, v3, v2, 0xab717b68
	s_delay_alu instid0(VALU_DEP_1) | instskip(NEXT) | instid1(VALU_DEP_2)
	v_div_scale_f32 v112, s0, v1, v83, v1
	v_fmaak_f32 v2, v3, v2, 0x2ce9b5e5
	s_mov_b32 vcc_lo, s0
	s_delay_alu instid0(VALU_DEP_1) | instskip(NEXT) | instid1(VALU_DEP_1)
	v_fmaak_f32 v2, v3, v2, 0x2e530dc3
	v_fmaak_f32 v2, v3, v2, 0xb09bdff9
	s_delay_alu instid0(VALU_DEP_1) | instskip(NEXT) | instid1(VALU_DEP_1)
	v_fmaak_f32 v2, v3, v2, 0x31f37576
	v_fmaak_f32 v2, v3, v2, 0xb370614f
	s_delay_alu instid0(VALU_DEP_1) | instskip(NEXT) | instid1(VALU_DEP_1)
	v_fmaak_f32 v2, v3, v2, 0x362874f9
	v_fmaak_f32 v2, v3, v2, 0xb88b2efe
	s_delay_alu instid0(VALU_DEP_1) | instskip(NEXT) | instid1(VALU_DEP_1)
	v_fmaak_f32 v2, v3, v2, 0x3a92a77e
	v_fmaak_f32 v2, v3, v2, 0xbc6e2917
	s_delay_alu instid0(VALU_DEP_1) | instskip(NEXT) | instid1(VALU_DEP_1)
	v_fmaak_f32 v2, v3, v2, 0x3e290a2d
	v_dual_fmaak_f32 v4, s1, v3, 0xa8f64f4f :: v_dual_add_f32 v85, 1.0, v2
	s_delay_alu instid0(VALU_DEP_1) | instskip(NEXT) | instid1(VALU_DEP_2)
	v_fmaak_f32 v4, v3, v4, 0xaab1bb1a
	v_div_scale_f32 v86, null, v85, v85, v2
	s_delay_alu instid0(VALU_DEP_2) | instskip(SKIP_1) | instid1(VALU_DEP_3)
	v_fmaak_f32 v4, v3, v4, 0x2d183ebc
	v_div_scale_f32 v113, s1, v2, v85, v2
	v_rcp_f32_e32 v97, v86
	s_delay_alu instid0(VALU_DEP_2) | instskip(NEXT) | instid1(VALU_DEP_1)
	v_fmaak_f32 v4, v3, v4, 0xae776687
	v_fmaak_f32 v4, v3, v4, 0xb054272a
	s_delay_alu instid0(TRANS32_DEP_1) | instskip(NEXT) | instid1(VALU_DEP_2)
	v_fma_f32 v103, -v86, v97, 1.0
	v_fmaak_f32 v4, v3, v4, 0x32b15a72
	s_delay_alu instid0(VALU_DEP_2) | instskip(NEXT) | instid1(VALU_DEP_1)
	v_fmac_f32_e32 v97, v103, v97
	v_dual_fmaak_f32 v4, v3, v4, 0xb428554c :: v_dual_mul_f32 v115, v113, v97
	s_delay_alu instid0(VALU_DEP_1) | instskip(NEXT) | instid1(VALU_DEP_1)
	v_fmaak_f32 v4, v3, v4, 0xb5d3fb27
	v_fmaak_f32 v4, v3, v4, 0x3883953b
	s_delay_alu instid0(VALU_DEP_1) | instskip(NEXT) | instid1(VALU_DEP_1)
	v_fmaak_f32 v4, v3, v4, 0xba84c991
	v_fmaak_f32 v4, v3, v4, 0x3c3a9de9
	;; [unrolled: 3-line block ×3, first 2 shown]
	v_div_scale_f32 v4, null, v83, v83, v1
	s_delay_alu instid0(VALU_DEP_2) | instskip(NEXT) | instid1(VALU_DEP_2)
	v_add_f32_e32 v96, 1.0, v3
	v_rcp_f32_e32 v84, v4
	s_delay_alu instid0(VALU_DEP_1) | instskip(SKIP_1) | instid1(VALU_DEP_2)
	v_div_scale_f32 v98, null, v96, v96, v3
	v_div_scale_f32 v103, s2, v3, v96, v3
	v_rcp_f32_e32 v100, v98
	s_delay_alu instid0(TRANS32_DEP_2) | instskip(NEXT) | instid1(VALU_DEP_1)
	v_fma_f32 v102, -v4, v84, 1.0
	v_fmac_f32_e32 v84, v102, v84
	s_delay_alu instid0(TRANS32_DEP_1) | instskip(NEXT) | instid1(VALU_DEP_2)
	v_fma_f32 v102, -v98, v100, 1.0
	v_mul_f32_e32 v114, v112, v84
	s_delay_alu instid0(VALU_DEP_2) | instskip(NEXT) | instid1(VALU_DEP_2)
	v_fmac_f32_e32 v100, v102, v100
	v_fma_f32 v101, -v4, v114, v112
	v_fma_f32 v102, -v86, v115, v113
	s_delay_alu instid0(VALU_DEP_3) | instskip(NEXT) | instid1(VALU_DEP_2)
	v_mul_f32_e32 v116, v103, v100
	v_dual_fmac_f32 v114, v101, v84 :: v_dual_fmac_f32 v115, v102, v97
	s_delay_alu instid0(VALU_DEP_2) | instskip(NEXT) | instid1(VALU_DEP_2)
	v_fma_f32 v87, -v98, v116, v103
	v_fma_f32 v4, -v4, v114, v112
	s_delay_alu instid0(VALU_DEP_3) | instskip(NEXT) | instid1(VALU_DEP_3)
	v_fma_f32 v81, -v86, v115, v113
	v_fmac_f32_e32 v116, v87, v100
	s_wait_alu 0xfffe
	s_delay_alu instid0(VALU_DEP_3)
	v_div_fmas_f32 v4, v4, v84, v114
	s_mov_b32 vcc_lo, s1
	s_wait_alu 0xfffe
	v_div_fmas_f32 v81, v81, v97, v115
	v_fma_f32 v84, -v98, v116, v103
	s_mov_b32 vcc_lo, s2
	v_div_fixup_f32 v4, v4, v83, v1
	s_delay_alu instid0(VALU_DEP_3) | instskip(SKIP_2) | instid1(VALU_DEP_3)
	v_div_fixup_f32 v7, v81, v85, v2
	s_wait_alu 0xfffe
	v_div_fmas_f32 v84, v84, v100, v116
	v_fma_f32 v5, -v6, v4, v5
	v_fma_f32 v6, -v0, v4, v6
	s_delay_alu instid0(VALU_DEP_3) | instskip(NEXT) | instid1(VALU_DEP_1)
	v_div_fixup_f32 v81, v84, v96, v3
	v_sub_f32_e32 v82, v81, v7
	v_sub_f32_e32 v83, v81, v4
	;; [unrolled: 1-line block ×3, first 2 shown]
	v_fma_f32 v7, -v7, v6, v5
	v_fma_f32 v5, v81, v6, -v5
	s_delay_alu instid0(VALU_DEP_3) | instskip(NEXT) | instid1(VALU_DEP_1)
	v_dual_mul_f32 v83, v82, v83 :: v_dual_mul_f32 v4, v4, v82
	v_div_scale_f32 v6, null, v83, v83, v7
	s_delay_alu instid0(VALU_DEP_2) | instskip(SKIP_1) | instid1(VALU_DEP_3)
	v_div_scale_f32 v81, null, v4, v4, v5
	v_div_scale_f32 v87, vcc_lo, v7, v83, v7
	v_rcp_f32_e32 v82, v6
	s_delay_alu instid0(VALU_DEP_2) | instskip(NEXT) | instid1(TRANS32_DEP_2)
	v_rcp_f32_e32 v84, v81
	v_fma_f32 v85, -v6, v82, 1.0
	s_delay_alu instid0(TRANS32_DEP_1) | instskip(NEXT) | instid1(VALU_DEP_2)
	v_fma_f32 v86, -v81, v84, 1.0
	v_fmac_f32_e32 v82, v85, v82
	v_div_scale_f32 v85, s0, v5, v4, v5
	s_delay_alu instid0(VALU_DEP_3) | instskip(NEXT) | instid1(VALU_DEP_3)
	v_fmac_f32_e32 v84, v86, v84
	v_mul_f32_e32 v86, v87, v82
	s_delay_alu instid0(VALU_DEP_2) | instskip(NEXT) | instid1(VALU_DEP_2)
	v_mul_f32_e32 v96, v85, v84
	v_fma_f32 v97, -v6, v86, v87
	s_delay_alu instid0(VALU_DEP_2) | instskip(NEXT) | instid1(VALU_DEP_2)
	v_fma_f32 v98, -v81, v96, v85
	v_fmac_f32_e32 v86, v97, v82
	s_delay_alu instid0(VALU_DEP_2) | instskip(NEXT) | instid1(VALU_DEP_2)
	v_fmac_f32_e32 v96, v98, v84
	v_fma_f32 v6, -v6, v86, v87
	s_delay_alu instid0(VALU_DEP_2) | instskip(SKIP_1) | instid1(VALU_DEP_2)
	v_fma_f32 v81, -v81, v96, v85
	s_wait_alu 0xfffd
	v_div_fmas_f32 v6, v6, v82, v86
	s_mov_b32 vcc_lo, s0
	s_wait_alu 0xfffe
	v_div_fmas_f32 v81, v81, v84, v96
	s_delay_alu instid0(VALU_DEP_1) | instskip(SKIP_1) | instid1(VALU_DEP_2)
	v_div_fixup_f32 v5, v81, v4, v5
	v_div_fixup_f32 v4, v6, v83, v7
	v_sub_f32_e32 v0, v0, v5
	s_delay_alu instid0(VALU_DEP_1)
	v_sub_f32_e32 v0, v0, v4
.LBB0_135:
	s_wait_alu 0xfffe
	s_or_b32 exec_lo, exec_lo, s12
                                        ; implicit-def: $vgpr81
                                        ; implicit-def: $vgpr7
                                        ; implicit-def: $vgpr6
.LBB0_136:
	s_wait_alu 0xfffe
	s_and_not1_saveexec_b32 s2, s11
	s_cbranch_execz .LBB0_138
; %bb.137:
	v_div_scale_f32 v1, null, v81, v81, 0xc6060060
	v_div_scale_f32 v4, vcc_lo, 0xc6060060, v81, 0xc6060060
	v_div_scale_f32 v85, s0, 0xc5024921, v81, 0xc5024921
	s_delay_alu instid0(VALU_DEP_3) | instskip(NEXT) | instid1(TRANS32_DEP_1)
	v_rcp_f32_e32 v2, v1
	v_fma_f32 v3, -v1, v2, 1.0
	s_delay_alu instid0(VALU_DEP_1) | instskip(NEXT) | instid1(VALU_DEP_1)
	v_fmac_f32_e32 v2, v3, v2
	v_mul_f32_e32 v3, v4, v2
	s_delay_alu instid0(VALU_DEP_1) | instskip(NEXT) | instid1(VALU_DEP_1)
	v_fma_f32 v5, -v1, v3, v4
	v_fmac_f32_e32 v3, v5, v2
	s_delay_alu instid0(VALU_DEP_1) | instskip(SKIP_1) | instid1(VALU_DEP_1)
	v_fma_f32 v1, -v1, v3, v4
	s_wait_alu 0xfffd
	v_div_fmas_f32 v1, v1, v2, v3
	s_delay_alu instid0(VALU_DEP_1) | instskip(NEXT) | instid1(VALU_DEP_1)
	v_div_fixup_f32 v1, v1, v81, 0xc6060060
	v_add_f32_e32 v1, 0x45b8b07a, v1
	s_delay_alu instid0(VALU_DEP_1) | instskip(SKIP_1) | instid1(VALU_DEP_2)
	v_div_scale_f32 v2, null, v81, v81, v1
	v_div_scale_f32 v5, vcc_lo, v1, v81, v1
	v_rcp_f32_e32 v3, v2
	s_delay_alu instid0(TRANS32_DEP_1) | instskip(NEXT) | instid1(VALU_DEP_1)
	v_fma_f32 v4, -v2, v3, 1.0
	v_fmac_f32_e32 v3, v4, v3
	s_delay_alu instid0(VALU_DEP_1) | instskip(NEXT) | instid1(VALU_DEP_1)
	v_mul_f32_e32 v4, v5, v3
	v_fma_f32 v82, -v2, v4, v5
	s_delay_alu instid0(VALU_DEP_1) | instskip(NEXT) | instid1(VALU_DEP_1)
	v_fmac_f32_e32 v4, v82, v3
	v_fma_f32 v2, -v2, v4, v5
	s_wait_alu 0xfffd
	s_delay_alu instid0(VALU_DEP_1) | instskip(NEXT) | instid1(VALU_DEP_1)
	v_div_fmas_f32 v2, v2, v3, v4
	v_div_fixup_f32 v1, v2, v81, v1
	s_delay_alu instid0(VALU_DEP_1) | instskip(NEXT) | instid1(VALU_DEP_1)
	v_add_f32_e32 v1, 0xc4d58275, v1
	v_div_scale_f32 v2, null, v81, v81, v1
	v_div_scale_f32 v5, vcc_lo, v1, v81, v1
	s_delay_alu instid0(VALU_DEP_2) | instskip(NEXT) | instid1(TRANS32_DEP_1)
	v_rcp_f32_e32 v3, v2
	v_fma_f32 v4, -v2, v3, 1.0
	s_delay_alu instid0(VALU_DEP_1) | instskip(NEXT) | instid1(VALU_DEP_1)
	v_fmac_f32_e32 v3, v4, v3
	v_mul_f32_e32 v4, v5, v3
	s_delay_alu instid0(VALU_DEP_1) | instskip(NEXT) | instid1(VALU_DEP_1)
	v_fma_f32 v82, -v2, v4, v5
	v_fmac_f32_e32 v4, v82, v3
	s_delay_alu instid0(VALU_DEP_1) | instskip(SKIP_1) | instid1(VALU_DEP_1)
	v_fma_f32 v2, -v2, v4, v5
	s_wait_alu 0xfffd
	v_div_fmas_f32 v2, v2, v3, v4
	v_div_scale_f32 v3, null, v81, v81, 0xc5024921
	s_delay_alu instid0(VALU_DEP_2) | instskip(SKIP_1) | instid1(VALU_DEP_3)
	v_div_fixup_f32 v1, v2, v81, v1
	v_add_f32_e32 v2, 0xbe8cee3d, v81
	v_rcp_f32_e32 v83, v3
	s_delay_alu instid0(VALU_DEP_2) | instskip(NEXT) | instid1(VALU_DEP_2)
	v_add_f32_e32 v1, 0x438444b2, v1
	v_div_scale_f32 v5, null, v2, v2, 0x3e8cee3d
	v_div_scale_f32 v86, s1, 0x3e8cee3d, v2, 0x3e8cee3d
	s_delay_alu instid0(VALU_DEP_3) | instskip(NEXT) | instid1(VALU_DEP_3)
	v_div_scale_f32 v4, null, v81, v81, v1
	v_rcp_f32_e32 v84, v5
	s_delay_alu instid0(TRANS32_DEP_2) | instskip(SKIP_1) | instid1(VALU_DEP_3)
	v_fma_f32 v96, -v3, v83, 1.0
	v_div_scale_f32 v98, vcc_lo, v1, v81, v1
	v_rcp_f32_e32 v82, v4
	s_delay_alu instid0(VALU_DEP_2) | instskip(NEXT) | instid1(TRANS32_DEP_2)
	v_fmac_f32_e32 v83, v96, v83
	v_fma_f32 v97, -v5, v84, 1.0
	s_delay_alu instid0(TRANS32_DEP_1) | instskip(NEXT) | instid1(VALU_DEP_2)
	v_fma_f32 v87, -v4, v82, 1.0
	v_fmac_f32_e32 v84, v97, v84
	s_delay_alu instid0(VALU_DEP_4) | instskip(NEXT) | instid1(VALU_DEP_2)
	v_mul_f32_e32 v96, v85, v83
	v_dual_fmac_f32 v82, v87, v82 :: v_dual_mul_f32 v97, v86, v84
	s_delay_alu instid0(VALU_DEP_2) | instskip(NEXT) | instid1(VALU_DEP_2)
	v_fma_f32 v100, -v3, v96, v85
	v_mul_f32_e32 v87, v98, v82
	s_delay_alu instid0(VALU_DEP_3) | instskip(NEXT) | instid1(VALU_DEP_3)
	v_fma_f32 v101, -v5, v97, v86
	v_fmac_f32_e32 v96, v100, v83
	s_delay_alu instid0(VALU_DEP_3) | instskip(NEXT) | instid1(VALU_DEP_3)
	v_fma_f32 v99, -v4, v87, v98
	v_fmac_f32_e32 v97, v101, v84
	;; [unrolled: 3-line block ×3, first 2 shown]
	s_delay_alu instid0(VALU_DEP_3) | instskip(NEXT) | instid1(VALU_DEP_2)
	v_fma_f32 v5, -v5, v97, v86
	v_fma_f32 v4, -v4, v87, v98
	s_wait_alu 0xfffd
	s_delay_alu instid0(VALU_DEP_1)
	v_div_fmas_f32 v4, v4, v82, v87
	s_mov_b32 vcc_lo, s1
	s_mov_b32 s1, 0xb72984d9
	s_wait_alu 0xfffe
	v_div_fmas_f32 v5, v5, v84, v97
	s_mov_b32 vcc_lo, s0
	v_div_fixup_f32 v4, v4, v81, v1
	s_wait_alu 0xfffe
	v_div_fmas_f32 v3, v3, v83, v96
	v_fmaak_f32 v99, s1, v81, 0x3a9c9bdc
	s_mov_b32 s1, 0x39b1bf10
	s_wait_alu 0xfffe
	v_fmaak_f32 v101, s1, v81, 0xbdbf7bb1
	v_div_fixup_f32 v3, v3, v81, 0xc5024921
	s_delay_alu instid0(VALU_DEP_2) | instskip(NEXT) | instid1(VALU_DEP_2)
	v_fmaak_f32 v1, v81, v101, 0xc0871bf9
	v_add_f32_e32 v3, 0xc4833fb4, v3
	s_delay_alu instid0(VALU_DEP_1) | instskip(SKIP_1) | instid1(VALU_DEP_2)
	v_div_scale_f32 v82, null, v81, v81, v3
	v_div_scale_f32 v85, vcc_lo, v3, v81, v3
	v_rcp_f32_e32 v83, v82
	s_delay_alu instid0(TRANS32_DEP_1) | instskip(NEXT) | instid1(VALU_DEP_1)
	v_fma_f32 v84, -v82, v83, 1.0
	v_fmac_f32_e32 v83, v84, v83
	s_delay_alu instid0(VALU_DEP_1) | instskip(NEXT) | instid1(VALU_DEP_1)
	v_mul_f32_e32 v84, v85, v83
	v_fma_f32 v86, -v82, v84, v85
	s_delay_alu instid0(VALU_DEP_1) | instskip(NEXT) | instid1(VALU_DEP_1)
	v_fmac_f32_e32 v84, v86, v83
	v_fma_f32 v82, -v82, v84, v85
	s_wait_alu 0xfffd
	s_delay_alu instid0(VALU_DEP_1) | instskip(NEXT) | instid1(VALU_DEP_1)
	v_div_fmas_f32 v82, v82, v83, v84
	v_div_fixup_f32 v3, v82, v81, v3
	s_delay_alu instid0(VALU_DEP_1) | instskip(NEXT) | instid1(VALU_DEP_1)
	v_add_f32_e32 v3, 0x43a9f21d, v3
	v_div_scale_f32 v82, null, v81, v81, v3
	v_div_scale_f32 v85, vcc_lo, v3, v81, v3
	s_delay_alu instid0(VALU_DEP_2) | instskip(NEXT) | instid1(TRANS32_DEP_1)
	v_rcp_f32_e32 v83, v82
	v_fma_f32 v84, -v82, v83, 1.0
	s_delay_alu instid0(VALU_DEP_1) | instskip(NEXT) | instid1(VALU_DEP_1)
	v_fmac_f32_e32 v83, v84, v83
	v_mul_f32_e32 v84, v85, v83
	s_delay_alu instid0(VALU_DEP_1) | instskip(NEXT) | instid1(VALU_DEP_1)
	v_fma_f32 v86, -v82, v84, v85
	v_fmac_f32_e32 v84, v86, v83
	s_delay_alu instid0(VALU_DEP_1) | instskip(SKIP_1) | instid1(VALU_DEP_1)
	v_fma_f32 v82, -v82, v84, v85
	s_wait_alu 0xfffd
	v_div_fmas_f32 v82, v82, v83, v84
	v_add_f32_e32 v83, 0xc02e6238, v81
	s_delay_alu instid0(VALU_DEP_2) | instskip(NEXT) | instid1(VALU_DEP_2)
	v_div_fixup_f32 v3, v82, v81, v3
	v_div_scale_f32 v85, null, v83, v83, 0x402e6238
	v_div_scale_f32 v98, s0, 0x402e6238, v83, 0x402e6238
	s_delay_alu instid0(VALU_DEP_3) | instskip(NEXT) | instid1(VALU_DEP_3)
	v_add_f32_e32 v3, 0xc31c2f4f, v3
	v_rcp_f32_e32 v86, v85
	s_delay_alu instid0(VALU_DEP_1) | instskip(SKIP_1) | instid1(VALU_DEP_2)
	v_div_scale_f32 v82, null, v81, v81, v3
	v_div_scale_f32 v96, vcc_lo, v3, v81, v3
	v_rcp_f32_e32 v84, v82
	s_delay_alu instid0(TRANS32_DEP_1) | instskip(NEXT) | instid1(VALU_DEP_1)
	v_fma_f32 v87, -v82, v84, 1.0
	v_fmac_f32_e32 v84, v87, v84
	s_delay_alu instid0(TRANS32_DEP_2) | instskip(NEXT) | instid1(VALU_DEP_1)
	v_fma_f32 v87, -v85, v86, 1.0
	v_dual_mul_f32 v97, v96, v84 :: v_dual_fmac_f32 v86, v87, v86
	s_delay_alu instid0(VALU_DEP_1) | instskip(NEXT) | instid1(VALU_DEP_1)
	v_fma_f32 v87, -v82, v97, v96
	v_dual_mul_f32 v100, v98, v86 :: v_dual_fmac_f32 v97, v87, v84
	v_fmaak_f32 v87, v81, v99, 0xbd89fc71
	s_delay_alu instid0(VALU_DEP_2) | instskip(NEXT) | instid1(VALU_DEP_3)
	v_fma_f32 v99, -v85, v100, v98
	v_fma_f32 v82, -v82, v97, v96
	s_delay_alu instid0(VALU_DEP_2) | instskip(SKIP_1) | instid1(VALU_DEP_2)
	v_dual_fmaak_f32 v87, v81, v87, 0x3fa0e734 :: v_dual_fmac_f32 v100, v99, v86
	s_wait_alu 0xfffd
	v_div_fmas_f32 v82, v82, v84, v97
	s_mov_b32 vcc_lo, s0
	s_delay_alu instid0(VALU_DEP_2) | instskip(SKIP_1) | instid1(VALU_DEP_3)
	v_fma_f32 v84, -v85, v100, v98
	v_fmac_f32_e32 v4, v81, v87
	v_div_fixup_f32 v3, v82, v81, v3
	s_wait_alu 0xfffe
	s_delay_alu instid0(VALU_DEP_3) | instskip(NEXT) | instid1(VALU_DEP_2)
	v_div_fmas_f32 v82, v84, v86, v100
	v_dual_add_f32 v4, 0xc1bedb3d, v4 :: v_dual_fmac_f32 v3, v81, v1
	v_div_fixup_f32 v1, v5, v2, 0x3e8cee3d
	s_delay_alu instid0(VALU_DEP_3) | instskip(SKIP_1) | instid1(VALU_DEP_4)
	v_div_fixup_f32 v2, v82, v83, 0x402e6238
	v_sub_f32_e32 v5, v6, v0
	v_add_f32_e32 v3, 0x4100225e, v3
	s_delay_alu instid0(VALU_DEP_4) | instskip(NEXT) | instid1(VALU_DEP_2)
	v_fmac_f32_e32 v1, v7, v4
	v_fmac_f32_e32 v2, v7, v3
	s_delay_alu instid0(VALU_DEP_1) | instskip(NEXT) | instid1(VALU_DEP_1)
	v_dual_fmac_f32 v6, v5, v1 :: v_dual_add_f32 v3, 1.0, v2
	v_dual_sub_f32 v4, v2, v1 :: v_dual_mul_f32 v3, v3, v6
	s_delay_alu instid0(VALU_DEP_1) | instskip(SKIP_1) | instid1(VALU_DEP_2)
	v_div_scale_f32 v5, null, v4, v4, v3
	v_div_scale_f32 v81, vcc_lo, v3, v4, v3
	v_rcp_f32_e32 v6, v5
	s_delay_alu instid0(TRANS32_DEP_1) | instskip(NEXT) | instid1(VALU_DEP_1)
	v_fma_f32 v7, -v5, v6, 1.0
	v_fmac_f32_e32 v6, v7, v6
	s_delay_alu instid0(VALU_DEP_1) | instskip(NEXT) | instid1(VALU_DEP_1)
	v_mul_f32_e32 v7, v81, v6
	v_fma_f32 v82, -v5, v7, v81
	s_delay_alu instid0(VALU_DEP_1) | instskip(NEXT) | instid1(VALU_DEP_1)
	v_fmac_f32_e32 v7, v82, v6
	v_fma_f32 v5, -v5, v7, v81
	s_wait_alu 0xfffd
	s_delay_alu instid0(VALU_DEP_1) | instskip(NEXT) | instid1(VALU_DEP_1)
	v_div_fmas_f32 v5, v5, v6, v7
	v_div_fixup_f32 v5, v5, v4, v3
	v_dual_mov_b32 v4, 0 :: v_dual_mov_b32 v3, 0
	s_delay_alu instid0(VALU_DEP_2)
	v_sub_f32_e32 v0, v0, v5
.LBB0_138:
	s_wait_alu 0xfffe
	s_or_b32 exec_lo, exec_lo, s2
                                        ; implicit-def: $vgpr6
.LBB0_139:
	s_wait_alu 0xfffe
	s_and_not1_saveexec_b32 s0, s10
	s_cbranch_execz .LBB0_143
; %bb.140:
	v_dual_mov_b32 v4, 0 :: v_dual_mov_b32 v1, 0
	s_mov_b32 s1, exec_lo
	v_cmpx_eq_u32_e32 0, v24
	s_cbranch_execz .LBB0_142
; %bb.141:
	v_sub_f32_e32 v1, v0, v6
	s_delay_alu instid0(VALU_DEP_1) | instskip(NEXT) | instid1(VALU_DEP_1)
	v_div_scale_f32 v2, null, v1, v1, v6
	v_rcp_f32_e32 v3, v2
	s_delay_alu instid0(TRANS32_DEP_1) | instskip(NEXT) | instid1(VALU_DEP_1)
	v_fma_f32 v5, -v2, v3, 1.0
	v_fmac_f32_e32 v3, v5, v3
	v_div_scale_f32 v5, vcc_lo, v6, v1, v6
	s_delay_alu instid0(VALU_DEP_1) | instskip(NEXT) | instid1(VALU_DEP_1)
	v_mul_f32_e32 v7, v5, v3
	v_fma_f32 v81, -v2, v7, v5
	s_delay_alu instid0(VALU_DEP_1) | instskip(NEXT) | instid1(VALU_DEP_1)
	v_fmac_f32_e32 v7, v81, v3
	v_fma_f32 v2, -v2, v7, v5
	s_wait_alu 0xfffd
	s_delay_alu instid0(VALU_DEP_1) | instskip(NEXT) | instid1(VALU_DEP_1)
	v_div_fmas_f32 v2, v2, v3, v7
	v_div_fixup_f32 v1, v2, v1, v6
.LBB0_142:
	s_wait_alu 0xfffe
	s_or_b32 exec_lo, exec_lo, s1
	v_dual_mov_b32 v5, 0 :: v_dual_mov_b32 v2, 0
	v_mov_b32_e32 v3, 0
.LBB0_143:
	s_wait_alu 0xfffe
	s_or_b32 exec_lo, exec_lo, s0
.LBB0_144:
	s_wait_alu 0xfffe
	s_or_b32 exec_lo, exec_lo, s3
                                        ; implicit-def: $vgpr81
.LBB0_145:
	s_wait_alu 0xfffe
	s_and_not1_saveexec_b32 s3, s9
	s_cbranch_execz .LBB0_159
; %bb.146:
	v_div_scale_f32 v0, null, v81, v81, 0x3ef01d82
	v_div_scale_f32 v3, vcc_lo, 0x3ef01d82, v81, 0x3ef01d82
	s_delay_alu instid0(VALU_DEP_2) | instskip(NEXT) | instid1(TRANS32_DEP_1)
	v_rcp_f32_e32 v1, v0
	v_fma_f32 v2, -v0, v1, 1.0
	s_delay_alu instid0(VALU_DEP_1) | instskip(NEXT) | instid1(VALU_DEP_1)
	v_fmac_f32_e32 v1, v2, v1
	v_mul_f32_e32 v2, v3, v1
	s_delay_alu instid0(VALU_DEP_1) | instskip(NEXT) | instid1(VALU_DEP_1)
	v_fma_f32 v4, -v0, v2, v3
	v_fmac_f32_e32 v2, v4, v1
	s_delay_alu instid0(VALU_DEP_1) | instskip(SKIP_1) | instid1(VALU_DEP_1)
	v_fma_f32 v0, -v0, v2, v3
	s_wait_alu 0xfffd
	v_div_fmas_f32 v0, v0, v1, v2
	s_delay_alu instid0(VALU_DEP_1) | instskip(NEXT) | instid1(VALU_DEP_1)
	v_div_fixup_f32 v0, v0, v81, 0x3ef01d82
	v_add_f32_e32 v0, 0xbf33161b, v0
	s_delay_alu instid0(VALU_DEP_1) | instskip(SKIP_1) | instid1(VALU_DEP_2)
	v_div_scale_f32 v1, null, v81, v81, v0
	v_div_scale_f32 v4, vcc_lo, v0, v81, v0
	v_rcp_f32_e32 v2, v1
	s_delay_alu instid0(TRANS32_DEP_1) | instskip(NEXT) | instid1(VALU_DEP_1)
	v_fma_f32 v3, -v1, v2, 1.0
	v_fmac_f32_e32 v2, v3, v2
	s_delay_alu instid0(VALU_DEP_1) | instskip(NEXT) | instid1(VALU_DEP_1)
	v_mul_f32_e32 v3, v4, v2
	v_fma_f32 v5, -v1, v3, v4
	s_delay_alu instid0(VALU_DEP_1) | instskip(NEXT) | instid1(VALU_DEP_1)
	v_fmac_f32_e32 v3, v5, v2
	v_fma_f32 v1, -v1, v3, v4
	s_wait_alu 0xfffd
	s_delay_alu instid0(VALU_DEP_1) | instskip(NEXT) | instid1(VALU_DEP_1)
	v_div_fmas_f32 v1, v1, v2, v3
	v_div_fixup_f32 v0, v1, v81, v0
	s_delay_alu instid0(VALU_DEP_1) | instskip(NEXT) | instid1(VALU_DEP_1)
	v_add_f32_e32 v0, 0x3f0971cf, v0
	v_div_scale_f32 v1, null, v81, v81, v0
	v_div_scale_f32 v4, vcc_lo, v0, v81, v0
	s_delay_alu instid0(VALU_DEP_2) | instskip(NEXT) | instid1(TRANS32_DEP_1)
	v_rcp_f32_e32 v2, v1
	v_fma_f32 v3, -v1, v2, 1.0
	s_delay_alu instid0(VALU_DEP_1) | instskip(NEXT) | instid1(VALU_DEP_1)
	v_fmac_f32_e32 v2, v3, v2
	v_mul_f32_e32 v3, v4, v2
	s_delay_alu instid0(VALU_DEP_1) | instskip(NEXT) | instid1(VALU_DEP_1)
	v_fma_f32 v5, -v1, v3, v4
	v_fmac_f32_e32 v3, v5, v2
	s_delay_alu instid0(VALU_DEP_1) | instskip(SKIP_1) | instid1(VALU_DEP_1)
	v_fma_f32 v1, -v1, v3, v4
	s_wait_alu 0xfffd
	v_div_fmas_f32 v1, v1, v2, v3
	s_delay_alu instid0(VALU_DEP_1) | instskip(NEXT) | instid1(VALU_DEP_1)
	v_div_fixup_f32 v0, v1, v81, v0
	v_add_f32_e32 v0, 0xbea85c72, v0
	s_delay_alu instid0(VALU_DEP_1) | instskip(SKIP_1) | instid1(VALU_DEP_2)
	v_div_scale_f32 v1, null, v81, v81, v0
	v_div_scale_f32 v4, vcc_lo, v0, v81, v0
	v_rcp_f32_e32 v2, v1
	s_delay_alu instid0(TRANS32_DEP_1) | instskip(NEXT) | instid1(VALU_DEP_1)
	v_fma_f32 v3, -v1, v2, 1.0
	v_fmac_f32_e32 v2, v3, v2
	s_delay_alu instid0(VALU_DEP_1) | instskip(NEXT) | instid1(VALU_DEP_1)
	v_mul_f32_e32 v3, v4, v2
	v_fma_f32 v5, -v1, v3, v4
	s_delay_alu instid0(VALU_DEP_1) | instskip(NEXT) | instid1(VALU_DEP_1)
	v_fmac_f32_e32 v3, v5, v2
	v_fma_f32 v1, -v1, v3, v4
	s_wait_alu 0xfffd
	s_delay_alu instid0(VALU_DEP_1) | instskip(NEXT) | instid1(VALU_DEP_1)
	v_div_fmas_f32 v1, v1, v2, v3
	v_div_fixup_f32 v0, v1, v81, v0
	s_delay_alu instid0(VALU_DEP_1) | instskip(NEXT) | instid1(VALU_DEP_1)
	v_add_f32_e32 v0, 0x3e7c5ef4, v0
	v_div_scale_f32 v1, null, v81, v81, v0
	v_div_scale_f32 v4, vcc_lo, v0, v81, v0
	s_delay_alu instid0(VALU_DEP_2) | instskip(NEXT) | instid1(TRANS32_DEP_1)
	v_rcp_f32_e32 v2, v1
	v_fma_f32 v3, -v1, v2, 1.0
	s_delay_alu instid0(VALU_DEP_1) | instskip(NEXT) | instid1(VALU_DEP_1)
	v_fmac_f32_e32 v2, v3, v2
	v_mul_f32_e32 v3, v4, v2
	s_delay_alu instid0(VALU_DEP_1) | instskip(NEXT) | instid1(VALU_DEP_1)
	v_fma_f32 v5, -v1, v3, v4
	v_fmac_f32_e32 v3, v5, v2
	s_delay_alu instid0(VALU_DEP_1) | instskip(SKIP_1) | instid1(VALU_DEP_1)
	v_fma_f32 v1, -v1, v3, v4
	s_wait_alu 0xfffd
	v_div_fmas_f32 v1, v1, v2, v3
	v_div_scale_f32 v2, null, v81, v81, 0x3f490fdb
	s_delay_alu instid0(VALU_DEP_2) | instskip(NEXT) | instid1(VALU_DEP_2)
	v_div_fixup_f32 v0, v1, v81, v0
	v_rcp_f32_e32 v4, v2
	s_delay_alu instid0(VALU_DEP_1) | instskip(NEXT) | instid1(VALU_DEP_1)
	v_add_f32_e32 v0, 0xbeffeb20, v0
	v_div_scale_f32 v1, null, v81, v81, v0
	s_delay_alu instid0(TRANS32_DEP_1) | instskip(SKIP_1) | instid1(VALU_DEP_3)
	v_fma_f32 v6, -v2, v4, 1.0
	v_div_scale_f32 v7, vcc_lo, v0, v81, v0
	v_rcp_f32_e32 v3, v1
	s_delay_alu instid0(VALU_DEP_2) | instskip(NEXT) | instid1(TRANS32_DEP_1)
	v_fmac_f32_e32 v4, v6, v4
	v_fma_f32 v5, -v1, v3, 1.0
	s_delay_alu instid0(VALU_DEP_1) | instskip(SKIP_1) | instid1(VALU_DEP_2)
	v_fmac_f32_e32 v3, v5, v3
	v_div_scale_f32 v5, s0, 0x3f490fdb, v81, 0x3f490fdb
	v_mul_f32_e32 v6, v7, v3
	s_delay_alu instid0(VALU_DEP_2) | instskip(NEXT) | instid1(VALU_DEP_2)
	v_mul_f32_e32 v82, v5, v4
	v_fma_f32 v83, -v1, v6, v7
	s_delay_alu instid0(VALU_DEP_2) | instskip(NEXT) | instid1(VALU_DEP_2)
	v_fma_f32 v84, -v2, v82, v5
	v_fmac_f32_e32 v6, v83, v3
	s_delay_alu instid0(VALU_DEP_2) | instskip(NEXT) | instid1(VALU_DEP_2)
	v_fmac_f32_e32 v82, v84, v4
	v_fma_f32 v1, -v1, v6, v7
	s_delay_alu instid0(VALU_DEP_2) | instskip(SKIP_1) | instid1(VALU_DEP_2)
	v_fma_f32 v2, -v2, v82, v5
	s_wait_alu 0xfffd
	v_div_fmas_f32 v1, v1, v3, v6
	s_mov_b32 vcc_lo, s0
	s_wait_alu 0xfffe
	v_div_fmas_f32 v2, v2, v4, v82
	s_delay_alu instid0(VALU_DEP_2) | instskip(NEXT) | instid1(VALU_DEP_2)
	v_div_fixup_f32 v0, v1, v81, v0
	v_div_fixup_f32 v2, v2, v81, 0x3f490fdb
	s_delay_alu instid0(VALU_DEP_1) | instskip(SKIP_2) | instid1(VALU_DEP_2)
	v_mul_f32_e32 v3, 0x4f800000, v2
	v_cmp_gt_f32_e32 vcc_lo, 0xf800000, v2
	s_wait_alu 0xfffd
	v_dual_cndmask_b32 v2, v2, v3 :: v_dual_mul_f32 v3, 0xbfb8aa3b, v81
	s_delay_alu instid0(VALU_DEP_1) | instskip(SKIP_1) | instid1(VALU_DEP_2)
	v_rndne_f32_e32 v5, v3
	v_fma_f32 v6, 0xbfb8aa3b, v81, -v3
	v_sub_f32_e32 v3, v3, v5
	s_delay_alu instid0(VALU_DEP_4) | instskip(NEXT) | instid1(VALU_DEP_2)
	v_sqrt_f32_e32 v4, v2
	v_fmamk_f32 v6, v81, 0xb2a5705f, v6
	v_cvt_i32_f32_e32 v5, v5
	s_delay_alu instid0(VALU_DEP_2) | instskip(NEXT) | instid1(TRANS32_DEP_1)
	v_add_f32_e32 v3, v3, v6
	v_add_nc_u32_e32 v7, -1, v4
	v_add_nc_u32_e32 v6, 1, v4
	s_delay_alu instid0(VALU_DEP_3) | instskip(NEXT) | instid1(VALU_DEP_2)
	v_exp_f32_e32 v3, v3
	v_fma_f32 v82, -v7, v4, v2
	s_delay_alu instid0(VALU_DEP_2) | instskip(NEXT) | instid1(VALU_DEP_2)
	v_fma_f32 v83, -v6, v4, v2
	v_cmp_ge_f32_e64 s0, 0, v82
	s_delay_alu instid0(TRANS32_DEP_1) | instskip(SKIP_1) | instid1(VALU_DEP_2)
	v_ldexp_f32 v3, v3, v5
	s_wait_alu 0xf1ff
	v_cndmask_b32_e64 v4, v4, v7, s0
	v_cmp_lt_f32_e64 s0, 0, v83
	v_add_f32_e32 v7, v81, v81
	s_wait_alu 0xf1ff
	s_delay_alu instid0(VALU_DEP_2) | instskip(SKIP_1) | instid1(VALU_DEP_2)
	v_cndmask_b32_e64 v4, v4, v6, s0
	v_cmp_nlt_f32_e64 s0, 0x42ce8ed0, v81
	v_mul_f32_e32 v5, 0x37800000, v4
	s_wait_alu 0xf1ff
	s_delay_alu instid0(VALU_DEP_2) | instskip(SKIP_1) | instid1(VALU_DEP_2)
	v_cndmask_b32_e64 v3, 0, v3, s0
	s_mov_b32 s0, exec_lo
	v_cndmask_b32_e32 v1, v4, v5, vcc_lo
	v_cmp_ngt_f32_e32 vcc_lo, 0xc2b17218, v81
	s_wait_alu 0xfffd
	v_cndmask_b32_e32 v82, 0x7f800000, v3, vcc_lo
	v_cmp_class_f32_e64 vcc_lo, v2, 0x260
	s_wait_alu 0xfffd
	v_dual_add_f32 v3, 0xb6536671, v0 :: v_dual_cndmask_b32 v0, v1, v2
	s_delay_alu instid0(VALU_DEP_1) | instskip(NEXT) | instid1(VALU_DEP_1)
	v_fmac_f32_e32 v0, v82, v3
	v_sub_f32_e32 v1, v0, v82
	s_delay_alu instid0(VALU_DEP_1) | instskip(SKIP_1) | instid1(VALU_DEP_2)
	v_div_scale_f32 v2, null, v7, v7, v1
	v_div_scale_f32 v5, vcc_lo, v1, v7, v1
	v_rcp_f32_e32 v3, v2
	s_delay_alu instid0(TRANS32_DEP_1) | instskip(NEXT) | instid1(VALU_DEP_1)
	v_fma_f32 v4, -v2, v3, 1.0
	v_fmac_f32_e32 v3, v4, v3
	s_delay_alu instid0(VALU_DEP_1) | instskip(NEXT) | instid1(VALU_DEP_1)
	v_mul_f32_e32 v4, v5, v3
	v_fma_f32 v6, -v2, v4, v5
	s_delay_alu instid0(VALU_DEP_1) | instskip(NEXT) | instid1(VALU_DEP_1)
	v_fmac_f32_e32 v4, v6, v3
	v_fma_f32 v2, -v2, v4, v5
                                        ; implicit-def: $vgpr5
	s_wait_alu 0xfffd
	s_delay_alu instid0(VALU_DEP_1) | instskip(NEXT) | instid1(VALU_DEP_1)
	v_div_fmas_f32 v2, v2, v3, v4
                                        ; implicit-def: $vgpr4
                                        ; implicit-def: $vgpr3
	v_div_fixup_f32 v6, v2, v7, v1
                                        ; implicit-def: $vgpr2
                                        ; implicit-def: $vgpr1
	v_cmpx_lt_i32_e32 0, v24
	s_wait_alu 0xfffe
	s_xor_b32 s9, exec_lo, s0
	s_cbranch_execz .LBB0_154
; %bb.147:
                                        ; implicit-def: $vgpr4
                                        ; implicit-def: $vgpr5
                                        ; implicit-def: $vgpr3
                                        ; implicit-def: $vgpr2
                                        ; implicit-def: $vgpr1
	s_mov_b32 s0, exec_lo
	v_cmpx_lt_i32_e32 1, v24
	s_wait_alu 0xfffe
	s_xor_b32 s10, exec_lo, s0
	s_cbranch_execz .LBB0_151
; %bb.148:
	v_dual_mov_b32 v4, 0 :: v_dual_mov_b32 v5, 0
	v_dual_mov_b32 v3, 0 :: v_dual_mov_b32 v2, 0
	v_mov_b32_e32 v1, 0
	s_mov_b32 s11, exec_lo
	v_cmpx_eq_u32_e32 2, v24
	s_cbranch_execz .LBB0_150
; %bb.149:
	v_fma_f32 v5, 2.0, v6, v6
	v_add_f32_e32 v3, 0xc0f00000, v81
	s_mov_b32 s0, 0x26259169
	s_mov_b32 s1, 0x27f012f7
	s_delay_alu instid0(VALU_DEP_2) | instskip(NEXT) | instid1(VALU_DEP_1)
	v_sub_f32_e32 v5, v5, v82
	v_div_scale_f32 v81, null, v7, v7, v5
	v_div_scale_f32 v87, vcc_lo, v5, v7, v5
	s_delay_alu instid0(VALU_DEP_2) | instskip(NEXT) | instid1(TRANS32_DEP_1)
	v_rcp_f32_e32 v82, v81
	v_fma_f32 v84, -v81, v82, 1.0
	s_wait_alu 0xfffe
	s_delay_alu instid0(VALU_DEP_1) | instskip(SKIP_1) | instid1(VALU_DEP_1)
	v_dual_fmac_f32 v82, v84, v82 :: v_dual_fmaak_f32 v1, s0, v3, 0x264d2fc8
	s_mov_b32 s0, 0x284c6614
	v_mul_f32_e32 v99, v87, v82
	s_delay_alu instid0(VALU_DEP_2) | instskip(NEXT) | instid1(VALU_DEP_2)
	v_fmaak_f32 v1, v3, v1, 0xa997b271
	v_fma_f32 v101, -v81, v99, v87
	s_delay_alu instid0(VALU_DEP_2) | instskip(NEXT) | instid1(VALU_DEP_2)
	v_fmaak_f32 v1, v3, v1, 0xab30554d
	v_fmac_f32_e32 v99, v101, v82
	s_delay_alu instid0(VALU_DEP_2) | instskip(NEXT) | instid1(VALU_DEP_2)
	v_fmaak_f32 v1, v3, v1, 0x2d676934
	v_fma_f32 v81, -v81, v99, v87
	s_delay_alu instid0(VALU_DEP_2) | instskip(SKIP_1) | instid1(VALU_DEP_2)
	v_fmaak_f32 v1, v3, v1, 0xae3a6c9b
	s_wait_alu 0xfffd
	v_div_fmas_f32 v81, v81, v82, v99
	s_delay_alu instid0(VALU_DEP_2) | instskip(NEXT) | instid1(VALU_DEP_1)
	v_fmaak_f32 v1, v3, v1, 0x30bf15ab
	v_fmaak_f32 v1, v3, v1, 0xb347e8b8
	s_delay_alu instid0(VALU_DEP_1) | instskip(NEXT) | instid1(VALU_DEP_1)
	v_fmaak_f32 v1, v3, v1, 0x35453202
	v_fmaak_f32 v1, v3, v1, 0xb7364b67
	s_delay_alu instid0(VALU_DEP_1) | instskip(NEXT) | instid1(VALU_DEP_1)
	v_fmaak_f32 v1, v3, v1, 0x393a92d3
	v_fmaak_f32 v1, v3, v1, 0xbb1d32a8
	s_delay_alu instid0(VALU_DEP_1) | instskip(SKIP_1) | instid1(VALU_DEP_1)
	v_fmaak_f32 v1, v3, v1, 0x3cc3e179
	s_wait_alu 0xfffe
	v_dual_fmaak_f32 v2, s0, v3, 0x27fbf9fd :: v_dual_add_f32 v83, 1.0, v1
	s_delay_alu instid0(VALU_DEP_1) | instskip(NEXT) | instid1(VALU_DEP_2)
	v_fmaak_f32 v2, v3, v2, 0xab71f1f5
	v_div_scale_f32 v112, s0, v1, v83, v1
	s_delay_alu instid0(VALU_DEP_2) | instskip(SKIP_1) | instid1(VALU_DEP_1)
	v_fmaak_f32 v2, v3, v2, 0xacba40b2
	s_mov_b32 vcc_lo, s0
	v_fmaak_f32 v2, v3, v2, 0xaddb36cc
	s_delay_alu instid0(VALU_DEP_1) | instskip(NEXT) | instid1(VALU_DEP_1)
	v_fmaak_f32 v2, v3, v2, 0x313c1292
	v_fmaak_f32 v2, v3, v2, 0xb2373c3d
	s_delay_alu instid0(VALU_DEP_1) | instskip(NEXT) | instid1(VALU_DEP_1)
	v_fmaak_f32 v2, v3, v2, 0xb4ec5bd9
	;; [unrolled: 3-line block ×4, first 2 shown]
	v_fmaak_f32 v2, v3, v2, 0x3e8d4bde
	s_delay_alu instid0(VALU_DEP_1) | instskip(NEXT) | instid1(VALU_DEP_1)
	v_dual_fmaak_f32 v4, s1, v3, 0x2a503dd5 :: v_dual_add_f32 v85, 1.0, v2
	v_fmaak_f32 v4, v3, v4, 0xac0bb11f
	s_delay_alu instid0(VALU_DEP_2) | instskip(NEXT) | instid1(VALU_DEP_2)
	v_div_scale_f32 v86, null, v85, v85, v2
	v_fmaak_f32 v4, v3, v4, 0xadcb20ac
	v_div_scale_f32 v113, s1, v2, v85, v2
	s_delay_alu instid0(VALU_DEP_3) | instskip(NEXT) | instid1(VALU_DEP_2)
	v_rcp_f32_e32 v97, v86
	v_fmaak_f32 v4, v3, v4, 0x2fd764bb
	s_delay_alu instid0(VALU_DEP_1) | instskip(NEXT) | instid1(TRANS32_DEP_1)
	v_fmaak_f32 v4, v3, v4, 0x30e4956d
	v_fma_f32 v103, -v86, v97, 1.0
	s_delay_alu instid0(VALU_DEP_2) | instskip(NEXT) | instid1(VALU_DEP_2)
	v_fmaak_f32 v4, v3, v4, 0xb385439a
	v_fmac_f32_e32 v97, v103, v97
	s_delay_alu instid0(VALU_DEP_1) | instskip(NEXT) | instid1(VALU_DEP_1)
	v_dual_fmaak_f32 v4, v3, v4, 0x3216a907 :: v_dual_mul_f32 v115, v113, v97
	v_fmaak_f32 v4, v3, v4, 0x3716877f
	s_delay_alu instid0(VALU_DEP_1) | instskip(SKIP_1) | instid1(VALU_DEP_2)
	v_fmaak_f32 v4, v3, v4, 0xb803cc7a
	v_div_fixup_f32 v5, v81, v7, v5
	v_fmaak_f32 v4, v3, v4, 0xbaf1106b
	s_delay_alu instid0(VALU_DEP_1) | instskip(NEXT) | instid1(VALU_DEP_1)
	v_fmaak_f32 v4, v3, v4, 0x3d0fdee6
	v_fmaak_f32 v4, v3, v4, 0xbea5091a
	s_delay_alu instid0(VALU_DEP_1) | instskip(SKIP_1) | instid1(VALU_DEP_2)
	v_fmaak_f32 v3, v3, v4, 0x3fde2f9f
	v_div_scale_f32 v4, null, v83, v83, v1
	v_add_f32_e32 v96, 1.0, v3
	s_delay_alu instid0(VALU_DEP_2) | instskip(NEXT) | instid1(VALU_DEP_1)
	v_rcp_f32_e32 v84, v4
	v_div_scale_f32 v98, null, v96, v96, v3
	v_div_scale_f32 v103, s2, v3, v96, v3
	s_delay_alu instid0(VALU_DEP_2) | instskip(NEXT) | instid1(TRANS32_DEP_2)
	v_rcp_f32_e32 v100, v98
	v_fma_f32 v102, -v4, v84, 1.0
	s_delay_alu instid0(VALU_DEP_1) | instskip(NEXT) | instid1(TRANS32_DEP_1)
	v_fmac_f32_e32 v84, v102, v84
	v_fma_f32 v102, -v98, v100, 1.0
	s_delay_alu instid0(VALU_DEP_2) | instskip(NEXT) | instid1(VALU_DEP_2)
	v_mul_f32_e32 v114, v112, v84
	v_fmac_f32_e32 v100, v102, v100
	s_delay_alu instid0(VALU_DEP_2) | instskip(SKIP_1) | instid1(VALU_DEP_3)
	v_fma_f32 v101, -v4, v114, v112
	v_fma_f32 v102, -v86, v115, v113
	v_mul_f32_e32 v116, v103, v100
	s_delay_alu instid0(VALU_DEP_2) | instskip(NEXT) | instid1(VALU_DEP_2)
	v_dual_fmac_f32 v114, v101, v84 :: v_dual_fmac_f32 v115, v102, v97
	v_fma_f32 v87, -v98, v116, v103
	s_delay_alu instid0(VALU_DEP_2) | instskip(NEXT) | instid1(VALU_DEP_3)
	v_fma_f32 v4, -v4, v114, v112
	v_fma_f32 v82, -v86, v115, v113
	s_delay_alu instid0(VALU_DEP_3) | instskip(SKIP_1) | instid1(VALU_DEP_3)
	v_fmac_f32_e32 v116, v87, v100
	s_wait_alu 0xfffe
	v_div_fmas_f32 v4, v4, v84, v114
	s_mov_b32 vcc_lo, s1
	s_wait_alu 0xfffe
	v_div_fmas_f32 v82, v82, v97, v115
	v_fma_f32 v84, -v98, v116, v103
	s_mov_b32 vcc_lo, s2
	v_div_fixup_f32 v4, v4, v83, v1
	s_delay_alu instid0(VALU_DEP_3) | instskip(SKIP_2) | instid1(VALU_DEP_3)
	v_div_fixup_f32 v7, v82, v85, v2
	s_wait_alu 0xfffe
	v_div_fmas_f32 v84, v84, v100, v116
	v_fma_f32 v5, -v6, v4, v5
	v_fma_f32 v6, -v0, v4, v6
	s_delay_alu instid0(VALU_DEP_3) | instskip(NEXT) | instid1(VALU_DEP_1)
	v_div_fixup_f32 v81, v84, v96, v3
	v_sub_f32_e32 v82, v81, v7
	v_sub_f32_e32 v83, v81, v4
	;; [unrolled: 1-line block ×3, first 2 shown]
	v_fma_f32 v7, -v7, v6, v5
	v_fma_f32 v5, v81, v6, -v5
	s_delay_alu instid0(VALU_DEP_3) | instskip(NEXT) | instid1(VALU_DEP_1)
	v_dual_mul_f32 v83, v82, v83 :: v_dual_mul_f32 v4, v4, v82
	v_div_scale_f32 v6, null, v83, v83, v7
	s_delay_alu instid0(VALU_DEP_2) | instskip(SKIP_1) | instid1(VALU_DEP_3)
	v_div_scale_f32 v81, null, v4, v4, v5
	v_div_scale_f32 v87, vcc_lo, v7, v83, v7
	v_rcp_f32_e32 v82, v6
	s_delay_alu instid0(VALU_DEP_2) | instskip(NEXT) | instid1(TRANS32_DEP_2)
	v_rcp_f32_e32 v84, v81
	v_fma_f32 v85, -v6, v82, 1.0
	s_delay_alu instid0(TRANS32_DEP_1) | instskip(NEXT) | instid1(VALU_DEP_2)
	v_fma_f32 v86, -v81, v84, 1.0
	v_fmac_f32_e32 v82, v85, v82
	v_div_scale_f32 v85, s0, v5, v4, v5
	s_delay_alu instid0(VALU_DEP_3) | instskip(NEXT) | instid1(VALU_DEP_3)
	v_fmac_f32_e32 v84, v86, v84
	v_mul_f32_e32 v86, v87, v82
	s_delay_alu instid0(VALU_DEP_2) | instskip(NEXT) | instid1(VALU_DEP_2)
	v_mul_f32_e32 v96, v85, v84
	v_fma_f32 v97, -v6, v86, v87
	s_delay_alu instid0(VALU_DEP_2) | instskip(NEXT) | instid1(VALU_DEP_2)
	v_fma_f32 v98, -v81, v96, v85
	v_fmac_f32_e32 v86, v97, v82
	s_delay_alu instid0(VALU_DEP_2) | instskip(NEXT) | instid1(VALU_DEP_2)
	v_fmac_f32_e32 v96, v98, v84
	v_fma_f32 v6, -v6, v86, v87
	s_delay_alu instid0(VALU_DEP_2) | instskip(SKIP_1) | instid1(VALU_DEP_2)
	v_fma_f32 v81, -v81, v96, v85
	s_wait_alu 0xfffd
	v_div_fmas_f32 v6, v6, v82, v86
	s_mov_b32 vcc_lo, s0
	s_wait_alu 0xfffe
	v_div_fmas_f32 v81, v81, v84, v96
	s_delay_alu instid0(VALU_DEP_1) | instskip(SKIP_1) | instid1(VALU_DEP_2)
	v_div_fixup_f32 v5, v81, v4, v5
	v_div_fixup_f32 v4, v6, v83, v7
	v_sub_f32_e32 v0, v0, v5
	s_delay_alu instid0(VALU_DEP_1)
	v_sub_f32_e32 v0, v0, v4
.LBB0_150:
	s_wait_alu 0xfffe
	s_or_b32 exec_lo, exec_lo, s11
                                        ; implicit-def: $vgpr81
                                        ; implicit-def: $vgpr6
.LBB0_151:
	s_wait_alu 0xfffe
	s_and_not1_saveexec_b32 s0, s10
	s_cbranch_execz .LBB0_153
; %bb.152:
	v_add_f32_e32 v1, 0xc0f00000, v81
	s_mov_b32 s1, 0xa52598e6
	s_wait_alu 0xfffe
	s_delay_alu instid0(VALU_DEP_1) | instskip(SKIP_3) | instid1(VALU_DEP_2)
	v_dual_sub_f32 v5, v6, v0 :: v_dual_fmaak_f32 v2, s1, v1, 0x25894ff5
	s_mov_b32 s1, 0x28e01771
	s_wait_alu 0xfffe
	v_fmaak_f32 v3, s1, v1, 0xaa19400c
	v_fmaak_f32 v2, v1, v2, 0x2874b170
	s_delay_alu instid0(VALU_DEP_2) | instskip(NEXT) | instid1(VALU_DEP_2)
	v_fmaak_f32 v3, v1, v3, 0xac1c860c
	v_fmaak_f32 v2, v1, v2, 0xa99f1434
	s_delay_alu instid0(VALU_DEP_2) | instskip(NEXT) | instid1(VALU_DEP_2)
	;; [unrolled: 3-line block ×12, first 2 shown]
	v_fmaak_f32 v2, v1, v3, 0x3f0b75bc
	v_fmaak_f32 v1, v1, v4, 0x3d188f1d
	s_delay_alu instid0(VALU_DEP_1) | instskip(NEXT) | instid1(VALU_DEP_1)
	v_dual_add_f32 v3, 1.0, v2 :: v_dual_fmac_f32 v6, v5, v1
	v_dual_mul_f32 v3, v3, v6 :: v_dual_sub_f32 v4, v2, v1
	s_delay_alu instid0(VALU_DEP_1) | instskip(SKIP_1) | instid1(VALU_DEP_2)
	v_div_scale_f32 v5, null, v4, v4, v3
	v_div_scale_f32 v81, vcc_lo, v3, v4, v3
	v_rcp_f32_e32 v6, v5
	s_delay_alu instid0(TRANS32_DEP_1) | instskip(NEXT) | instid1(VALU_DEP_1)
	v_fma_f32 v7, -v5, v6, 1.0
	v_fmac_f32_e32 v6, v7, v6
	s_delay_alu instid0(VALU_DEP_1) | instskip(NEXT) | instid1(VALU_DEP_1)
	v_mul_f32_e32 v7, v81, v6
	v_fma_f32 v82, -v5, v7, v81
	s_delay_alu instid0(VALU_DEP_1) | instskip(NEXT) | instid1(VALU_DEP_1)
	v_fmac_f32_e32 v7, v82, v6
	v_fma_f32 v5, -v5, v7, v81
	s_wait_alu 0xfffd
	s_delay_alu instid0(VALU_DEP_1) | instskip(NEXT) | instid1(VALU_DEP_1)
	v_div_fmas_f32 v5, v5, v6, v7
	v_div_fixup_f32 v5, v5, v4, v3
	v_dual_mov_b32 v4, 0 :: v_dual_mov_b32 v3, 0
	s_delay_alu instid0(VALU_DEP_2)
	v_sub_f32_e32 v0, v0, v5
.LBB0_153:
	s_wait_alu 0xfffe
	s_or_b32 exec_lo, exec_lo, s0
                                        ; implicit-def: $vgpr6
.LBB0_154:
	s_wait_alu 0xfffe
	s_and_not1_saveexec_b32 s0, s9
	s_cbranch_execz .LBB0_158
; %bb.155:
	v_dual_mov_b32 v4, 0 :: v_dual_mov_b32 v1, 0
	s_mov_b32 s1, exec_lo
	v_cmpx_eq_u32_e32 0, v24
	s_cbranch_execz .LBB0_157
; %bb.156:
	v_sub_f32_e32 v1, v0, v6
	s_delay_alu instid0(VALU_DEP_1) | instskip(NEXT) | instid1(VALU_DEP_1)
	v_div_scale_f32 v2, null, v1, v1, v6
	v_rcp_f32_e32 v3, v2
	s_delay_alu instid0(TRANS32_DEP_1) | instskip(NEXT) | instid1(VALU_DEP_1)
	v_fma_f32 v5, -v2, v3, 1.0
	v_fmac_f32_e32 v3, v5, v3
	v_div_scale_f32 v5, vcc_lo, v6, v1, v6
	s_delay_alu instid0(VALU_DEP_1) | instskip(NEXT) | instid1(VALU_DEP_1)
	v_mul_f32_e32 v7, v5, v3
	v_fma_f32 v81, -v2, v7, v5
	s_delay_alu instid0(VALU_DEP_1) | instskip(NEXT) | instid1(VALU_DEP_1)
	v_fmac_f32_e32 v7, v81, v3
	v_fma_f32 v2, -v2, v7, v5
	s_wait_alu 0xfffd
	s_delay_alu instid0(VALU_DEP_1) | instskip(NEXT) | instid1(VALU_DEP_1)
	v_div_fmas_f32 v2, v2, v3, v7
	v_div_fixup_f32 v1, v2, v1, v6
.LBB0_157:
	s_wait_alu 0xfffe
	s_or_b32 exec_lo, exec_lo, s1
	v_dual_mov_b32 v5, 0 :: v_dual_mov_b32 v2, 0
	v_mov_b32_e32 v3, 0
.LBB0_158:
	s_wait_alu 0xfffe
	s_or_b32 exec_lo, exec_lo, s0
.LBB0_159:
	s_wait_alu 0xfffe
	s_or_b32 exec_lo, exec_lo, s3
                                        ; implicit-def: $vgpr81
.LBB0_160:
	s_wait_alu 0xfffe
	s_and_not1_saveexec_b32 s3, s8
	s_cbranch_execz .LBB0_364
; %bb.161:
	v_add_f32_e32 v6, -4.0, v81
                                        ; implicit-def: $vgpr4
                                        ; implicit-def: $vgpr5
                                        ; implicit-def: $vgpr0
                                        ; implicit-def: $vgpr3
                                        ; implicit-def: $vgpr2
                                        ; implicit-def: $vgpr1
	s_mov_b32 s0, exec_lo
	v_cmpx_lt_i32_e32 0, v24
	s_wait_alu 0xfffe
	s_xor_b32 s8, exec_lo, s0
	s_cbranch_execz .LBB0_169
; %bb.162:
                                        ; implicit-def: $vgpr4
                                        ; implicit-def: $vgpr5
                                        ; implicit-def: $vgpr0
                                        ; implicit-def: $vgpr3
                                        ; implicit-def: $vgpr2
                                        ; implicit-def: $vgpr1
	s_mov_b32 s0, exec_lo
	v_cmpx_lt_i32_e32 1, v24
	s_wait_alu 0xfffe
	s_xor_b32 s9, exec_lo, s0
	s_cbranch_execz .LBB0_166
; %bb.163:
	v_dual_mov_b32 v4, 0 :: v_dual_mov_b32 v5, 0
	v_dual_mov_b32 v0, 0 :: v_dual_mov_b32 v3, 0
	;; [unrolled: 1-line block ×3, first 2 shown]
	s_mov_b32 s10, exec_lo
	v_cmpx_eq_u32_e32 2, v24
	s_cbranch_execz .LBB0_165
; %bb.164:
	v_mul_f32_e32 v3, 0xbfb8aa3b, v81
	s_mov_b32 s0, 0x2d7dcb80
	s_mov_b32 s1, 0xadd04817
	v_cmp_nlt_f32_e32 vcc_lo, 0x42ce8ed0, v81
	s_wait_alu 0xfffe
	v_fmaak_f32 v1, s1, v6, 0x2f9ef5e4
	v_rndne_f32_e32 v5, v3
	v_fmaak_f32 v0, s0, v6, 0xb000439b
	v_fma_f32 v7, 0xbfb8aa3b, v81, -v3
	s_mov_b32 s0, 0xade98f26
	v_fmaak_f32 v1, v6, v1, 0xb15a9abc
	s_delay_alu instid0(VALU_DEP_3) | instskip(NEXT) | instid1(VALU_DEP_3)
	v_dual_sub_f32 v3, v3, v5 :: v_dual_fmaak_f32 v0, v6, v0, 0x32036958
	v_fmamk_f32 v7, v81, 0xb2a5705f, v7
	s_wait_alu 0xfffe
	v_fmaak_f32 v2, s0, v6, 0x2f59351d
	v_fmaak_f32 v1, v6, v1, 0x330bbb29
	v_cvt_i32_f32_e32 v5, v5
	v_dual_fmaak_f32 v0, v6, v0, 0xb4041055 :: v_dual_add_f32 v3, v3, v7
	s_mov_b32 s1, 0xafd7f66f
	s_delay_alu instid0(VALU_DEP_3) | instskip(SKIP_1) | instid1(VALU_DEP_3)
	v_fmaak_f32 v1, v6, v1, 0xb4a187c8
	v_fmaak_f32 v2, v6, v2, 0x31146a0b
	;; [unrolled: 1-line block ×3, first 2 shown]
	v_exp_f32_e32 v3, v3
	s_delay_alu instid0(VALU_DEP_3) | instskip(NEXT) | instid1(VALU_DEP_3)
	v_fmaak_f32 v1, v6, v1, 0x3626eec8
	v_fmaak_f32 v2, v6, v2, 0xb3aabc19
	s_delay_alu instid0(VALU_DEP_3) | instskip(NEXT) | instid1(VALU_DEP_3)
	v_fmaak_f32 v0, v6, v0, 0xb7f0cb3c
	v_fmaak_f32 v1, v6, v1, 0xb798214c
	;; [unrolled: 3-line block ×6, first 2 shown]
	s_wait_alu 0xfffe
	v_fmaak_f32 v4, s1, v6, 0xb18f14fa
	v_ldexp_f32 v0, v3, v5
	v_add_f32_e32 v5, v81, v81
	v_fmaak_f32 v3, v6, v7, 0x3b2d65dd
	v_fmaak_f32 v2, v6, v2, 0x3badde13
	s_wait_alu 0xfffd
	v_cndmask_b32_e32 v0, 0, v0, vcc_lo
	v_cmp_ngt_f32_e32 vcc_lo, 0xc2b17218, v81
	v_dual_add_f32 v81, 1.0, v1 :: v_dual_fmaak_f32 v4, v6, v4, 0x333e03d4
	v_fmaak_f32 v3, v6, v3, 0xbc0df41e
	v_fmaak_f32 v2, v6, v2, 0xbd73173b
	s_wait_alu 0xfffd
	v_cndmask_b32_e32 v0, 0x7f800000, v0, vcc_lo
	v_fmaak_f32 v4, v6, v4, 0x352bf3f3
	v_fmaak_f32 v7, v6, v3, 0x3c8f923b
	;; [unrolled: 1-line block ×3, first 2 shown]
	s_delay_alu instid0(VALU_DEP_3) | instskip(NEXT) | instid1(VALU_DEP_1)
	v_fmaak_f32 v4, v6, v4, 0xb64d06a4
	v_fmaak_f32 v4, v6, v4, 0xb8dcd299
	s_delay_alu instid0(VALU_DEP_1) | instskip(NEXT) | instid1(VALU_DEP_1)
	v_fmaak_f32 v4, v6, v4, 0xba20fcf6
	v_fmaak_f32 v4, v6, v4, 0x3d48912e
	s_delay_alu instid0(VALU_DEP_1) | instskip(NEXT) | instid1(VALU_DEP_1)
	v_fmaak_f32 v4, v6, v4, 0xbf1fdf20
	v_fmaak_f32 v3, v6, v4, 0x40574dcb
	v_fma_f32 v6, v5, v7, v0
	v_add_f32_e32 v4, 1.0, v2
	s_delay_alu instid0(VALU_DEP_3) | instskip(NEXT) | instid1(VALU_DEP_3)
	v_add_f32_e32 v84, 1.0, v3
	v_div_scale_f32 v85, null, 0x40400000, 0x40400000, v6
	v_div_scale_f32 v103, vcc_lo, v6, 0x40400000, v6
	s_delay_alu instid0(VALU_DEP_4) | instskip(NEXT) | instid1(VALU_DEP_3)
	v_div_scale_f32 v83, null, v4, v4, v2
	v_rcp_f32_e32 v97, v85
	v_div_scale_f32 v96, null, v84, v84, v3
	s_delay_alu instid0(VALU_DEP_2) | instskip(NEXT) | instid1(VALU_DEP_1)
	v_rcp_f32_e32 v87, v83
	v_rcp_f32_e32 v98, v96
	s_delay_alu instid0(TRANS32_DEP_3) | instskip(NEXT) | instid1(TRANS32_DEP_2)
	v_fma_f32 v102, -v85, v97, 1.0
	v_fma_f32 v101, -v83, v87, 1.0
	s_delay_alu instid0(VALU_DEP_2) | instskip(NEXT) | instid1(VALU_DEP_2)
	v_fmac_f32_e32 v97, v102, v97
	v_fmac_f32_e32 v87, v101, v87
	v_div_scale_f32 v101, s1, v2, v4, v2
	s_delay_alu instid0(VALU_DEP_3) | instskip(SKIP_2) | instid1(VALU_DEP_4)
	v_mul_f32_e32 v112, v103, v97
	v_div_scale_f32 v82, null, v81, v81, v1
	v_div_scale_f32 v99, s0, v1, v81, v1
	v_mul_f32_e32 v113, v101, v87
	s_delay_alu instid0(VALU_DEP_3) | instskip(SKIP_1) | instid1(VALU_DEP_2)
	v_rcp_f32_e32 v86, v82
	v_fma_f32 v116, -v85, v112, v103
	v_fma_f32 v117, -v83, v113, v101
	s_delay_alu instid0(VALU_DEP_1) | instskip(NEXT) | instid1(TRANS32_DEP_1)
	v_dual_fmac_f32 v112, v116, v97 :: v_dual_fmac_f32 v113, v117, v87
	v_fma_f32 v100, -v82, v86, 1.0
	s_delay_alu instid0(VALU_DEP_2) | instskip(NEXT) | instid1(VALU_DEP_3)
	v_fma_f32 v85, -v85, v112, v103
	v_fma_f32 v83, -v83, v113, v101
	s_delay_alu instid0(VALU_DEP_3)
	v_fmac_f32_e32 v86, v100, v86
	v_fma_f32 v100, -v96, v98, 1.0
	s_wait_alu 0xfffd
	v_div_fmas_f32 v85, v85, v97, v112
	s_mov_b32 vcc_lo, s0
	v_mul_f32_e32 v102, v99, v86
	v_fmac_f32_e32 v98, v100, v98
	v_div_scale_f32 v100, s2, v3, v84, v3
	v_div_fixup_f32 v6, v85, 0x40400000, v6
	s_delay_alu instid0(VALU_DEP_4) | instskip(NEXT) | instid1(VALU_DEP_3)
	v_fma_f32 v115, -v82, v102, v99
	v_mul_f32_e32 v114, v100, v98
	s_delay_alu instid0(VALU_DEP_3) | instskip(NEXT) | instid1(VALU_DEP_3)
	v_fmac_f32_e32 v0, v5, v6
	v_fmac_f32_e32 v102, v115, v86
	s_delay_alu instid0(VALU_DEP_3) | instskip(NEXT) | instid1(VALU_DEP_2)
	v_fma_f32 v118, -v96, v114, v100
	v_fma_f32 v82, -v82, v102, v99
	s_delay_alu instid0(VALU_DEP_2) | instskip(SKIP_1) | instid1(VALU_DEP_2)
	v_fmac_f32_e32 v114, v118, v98
	s_wait_alu 0xfffe
	v_div_fmas_f32 v82, v82, v86, v102
	s_mov_b32 vcc_lo, s1
	s_delay_alu instid0(VALU_DEP_2)
	v_fma_f32 v96, -v96, v114, v100
	s_wait_alu 0xfffe
	v_div_fmas_f32 v83, v83, v87, v113
	s_mov_b32 vcc_lo, s2
	v_div_fixup_f32 v81, v82, v81, v1
	s_wait_alu 0xfffe
	v_div_fmas_f32 v85, v96, v98, v114
	v_div_fixup_f32 v4, v83, v4, v2
	s_delay_alu instid0(VALU_DEP_3) | instskip(SKIP_1) | instid1(VALU_DEP_4)
	v_fma_f32 v7, -v81, v6, v7
	v_fma_f32 v6, -v81, v0, v6
	v_div_fixup_f32 v5, v85, v84, v3
	s_delay_alu instid0(VALU_DEP_1) | instskip(SKIP_4) | instid1(VALU_DEP_3)
	v_sub_f32_e32 v82, v5, v4
	v_sub_f32_e32 v83, v5, v81
	;; [unrolled: 1-line block ×3, first 2 shown]
	v_fma_f32 v4, -v4, v6, v7
	v_fma_f32 v5, v5, v6, -v7
	v_mul_f32_e32 v6, v82, v81
	s_delay_alu instid0(VALU_DEP_1) | instskip(NEXT) | instid1(VALU_DEP_1)
	v_div_scale_f32 v81, null, v6, v6, v5
	v_rcp_f32_e32 v84, v81
	s_delay_alu instid0(TRANS32_DEP_1) | instskip(NEXT) | instid1(VALU_DEP_1)
	v_fma_f32 v86, -v81, v84, 1.0
	v_fmac_f32_e32 v84, v86, v84
	v_mul_f32_e32 v83, v82, v83
	s_delay_alu instid0(VALU_DEP_1) | instskip(NEXT) | instid1(VALU_DEP_1)
	v_div_scale_f32 v7, null, v83, v83, v4
	v_rcp_f32_e32 v82, v7
	s_delay_alu instid0(TRANS32_DEP_1) | instskip(NEXT) | instid1(VALU_DEP_1)
	v_fma_f32 v85, -v7, v82, 1.0
	v_fmac_f32_e32 v82, v85, v82
	v_div_scale_f32 v85, s0, v5, v6, v5
	s_delay_alu instid0(VALU_DEP_1) | instskip(SKIP_1) | instid1(VALU_DEP_2)
	v_mul_f32_e32 v96, v85, v84
	v_div_scale_f32 v87, vcc_lo, v4, v83, v4
	v_fma_f32 v98, -v81, v96, v85
	s_delay_alu instid0(VALU_DEP_2) | instskip(NEXT) | instid1(VALU_DEP_2)
	v_mul_f32_e32 v86, v87, v82
	v_fmac_f32_e32 v96, v98, v84
	s_delay_alu instid0(VALU_DEP_2) | instskip(NEXT) | instid1(VALU_DEP_2)
	v_fma_f32 v97, -v7, v86, v87
	v_fma_f32 v81, -v81, v96, v85
	s_delay_alu instid0(VALU_DEP_2) | instskip(NEXT) | instid1(VALU_DEP_1)
	v_fmac_f32_e32 v86, v97, v82
	v_fma_f32 v7, -v7, v86, v87
	s_wait_alu 0xfffd
	s_delay_alu instid0(VALU_DEP_1) | instskip(SKIP_3) | instid1(VALU_DEP_2)
	v_div_fmas_f32 v7, v7, v82, v86
	s_mov_b32 vcc_lo, s0
	s_wait_alu 0xfffe
	v_div_fmas_f32 v81, v81, v84, v96
	v_div_fixup_f32 v4, v7, v83, v4
	s_delay_alu instid0(VALU_DEP_2) | instskip(NEXT) | instid1(VALU_DEP_1)
	v_div_fixup_f32 v5, v81, v6, v5
	v_sub_f32_e32 v0, v0, v5
	s_delay_alu instid0(VALU_DEP_1)
	v_sub_f32_e32 v0, v0, v4
.LBB0_165:
	s_wait_alu 0xfffe
	s_or_b32 exec_lo, exec_lo, s10
                                        ; implicit-def: $vgpr6
                                        ; implicit-def: $vgpr81
.LBB0_166:
	s_wait_alu 0xfffe
	s_and_not1_saveexec_b32 s0, s9
	s_cbranch_execz .LBB0_168
; %bb.167:
	v_mul_f32_e32 v1, 0xbfb8aa3b, v81
	s_mov_b32 s1, 0xade6db4a
	s_mov_b32 s2, 0xac90ce0a
	v_cmp_nlt_f32_e32 vcc_lo, 0x42ce8ed0, v81
	s_wait_alu 0xfffe
	v_fmaak_f32 v5, s2, v6, 0x2e9c54b0
	v_rndne_f32_e32 v3, v1
	v_fma_f32 v4, 0xbfb8aa3b, v81, -v1
	v_fmaak_f32 v0, s1, v6, 0x2fb22351
	s_mov_b32 s1, 0xaf4685e4
	v_fmaak_f32 v5, v6, v5, 0xb0ee7801
	v_sub_f32_e32 v1, v1, v3
	v_fmamk_f32 v4, v81, 0xb2a5705f, v4
	s_wait_alu 0xfffe
	v_fmaak_f32 v2, s1, v6, 0x30158db2
	v_fmaak_f32 v0, v6, v0, 0xb1786b26
	v_cvt_i32_f32_e32 v3, v3
	v_dual_add_f32 v1, v1, v4 :: v_dual_fmaak_f32 v4, v6, v5, 0x337eb864
	v_add_f32_e32 v5, v81, v81
	s_delay_alu instid0(VALU_DEP_2) | instskip(NEXT) | instid1(VALU_DEP_2)
	v_exp_f32_e32 v1, v1
	v_fmaak_f32 v4, v6, v4, 0xb583020c
	s_delay_alu instid0(VALU_DEP_1) | instskip(NEXT) | instid1(TRANS32_DEP_1)
	v_fmaak_f32 v4, v6, v4, 0x373601b0
	v_ldexp_f32 v1, v1, v3
	v_fmaak_f32 v0, v6, v0, 0x33218076
	s_delay_alu instid0(VALU_DEP_3) | instskip(SKIP_1) | instid1(VALU_DEP_2)
	v_fmaak_f32 v3, v6, v4, 0xb8ec27f6
	s_wait_alu 0xfffd
	v_dual_cndmask_b32 v1, 0, v1 :: v_dual_fmaak_f32 v0, v6, v0, 0xb4bec7bc
	v_cmp_ngt_f32_e32 vcc_lo, 0xc2b17218, v81
	s_delay_alu instid0(VALU_DEP_3) | instskip(NEXT) | instid1(VALU_DEP_3)
	v_fmaak_f32 v3, v6, v3, 0x3a9851e9
	v_fmaak_f32 v0, v6, v0, 0x364ad720
	s_wait_alu 0xfffd
	v_cndmask_b32_e32 v7, 0x7f800000, v1, vcc_lo
	s_delay_alu instid0(VALU_DEP_2) | instskip(NEXT) | instid1(VALU_DEP_1)
	v_fmaak_f32 v0, v6, v0, 0xb7c01b80
	v_fmaak_f32 v0, v6, v0, 0x392011ae
	s_delay_alu instid0(VALU_DEP_1) | instskip(NEXT) | instid1(VALU_DEP_1)
	v_fmaak_f32 v0, v6, v0, 0xba67327d
	v_fmaak_f32 v0, v6, v0, 0x3b8df41e
	s_delay_alu instid0(VALU_DEP_1) | instskip(NEXT) | instid1(VALU_DEP_1)
	;; [unrolled: 3-line block ×3, first 2 shown]
	v_dual_fmaak_f32 v2, v6, v2, 0x3289bd4b :: v_dual_fmac_f32 v7, v5, v0
	v_fmaak_f32 v2, v6, v2, 0xb420d855
	v_fmaak_f32 v1, v6, v3, 0xbc2221af
	s_delay_alu instid0(VALU_DEP_2) | instskip(NEXT) | instid1(VALU_DEP_2)
	v_dual_sub_f32 v3, v0, v7 :: v_dual_fmaak_f32 v2, v6, v2, 0xb53c5c79
	v_fmaak_f32 v1, v6, v1, 0x3d7aeab0
	s_delay_alu instid0(VALU_DEP_2) | instskip(NEXT) | instid1(VALU_DEP_2)
	v_fmaak_f32 v2, v6, v2, 0x379bedff
	v_fmac_f32_e32 v0, v1, v3
	s_delay_alu instid0(VALU_DEP_2) | instskip(NEXT) | instid1(VALU_DEP_1)
	v_fmaak_f32 v2, v6, v2, 0xb7abb3dc
	v_fmaak_f32 v2, v6, v2, 0xbb236640
	s_delay_alu instid0(VALU_DEP_1) | instskip(NEXT) | instid1(VALU_DEP_1)
	v_fmaak_f32 v2, v6, v2, 0x3d120b0d
	v_fmaak_f32 v2, v6, v2, 0xbe85556f
	s_delay_alu instid0(VALU_DEP_1) | instskip(NEXT) | instid1(VALU_DEP_1)
	v_fmaak_f32 v2, v6, v2, 0x3f8f8f0b
	v_dual_add_f32 v4, 1.0, v2 :: v_dual_sub_f32 v3, v2, v1
	s_delay_alu instid0(VALU_DEP_1) | instskip(NEXT) | instid1(VALU_DEP_1)
	v_mul_f32_e32 v0, v4, v0
	v_div_scale_f32 v4, null, v3, v3, v0
	v_div_scale_f32 v81, vcc_lo, v0, v3, v0
	s_delay_alu instid0(VALU_DEP_2) | instskip(NEXT) | instid1(TRANS32_DEP_1)
	v_rcp_f32_e32 v5, v4
	v_fma_f32 v6, -v4, v5, 1.0
	s_delay_alu instid0(VALU_DEP_1) | instskip(NEXT) | instid1(VALU_DEP_1)
	v_fmac_f32_e32 v5, v6, v5
	v_mul_f32_e32 v6, v81, v5
	s_delay_alu instid0(VALU_DEP_1) | instskip(NEXT) | instid1(VALU_DEP_1)
	v_fma_f32 v82, -v4, v6, v81
	v_fmac_f32_e32 v6, v82, v5
	s_delay_alu instid0(VALU_DEP_1) | instskip(SKIP_1) | instid1(VALU_DEP_1)
	v_fma_f32 v4, -v4, v6, v81
	s_wait_alu 0xfffd
	v_div_fmas_f32 v4, v4, v5, v6
	s_delay_alu instid0(VALU_DEP_1) | instskip(SKIP_1) | instid1(VALU_DEP_2)
	v_div_fixup_f32 v5, v4, v3, v0
	v_dual_mov_b32 v4, 0 :: v_dual_mov_b32 v3, 0
	v_sub_f32_e32 v0, v7, v5
.LBB0_168:
	s_wait_alu 0xfffe
	s_or_b32 exec_lo, exec_lo, s0
                                        ; implicit-def: $vgpr6
                                        ; implicit-def: $vgpr81
.LBB0_169:
	s_wait_alu 0xfffe
	s_and_not1_saveexec_b32 s0, s8
	s_cbranch_execz .LBB0_173
; %bb.170:
	v_dual_mov_b32 v4, 0 :: v_dual_mov_b32 v1, 0
	v_mov_b32_e32 v0, 0
	s_mov_b32 s1, exec_lo
	v_cmpx_eq_u32_e32 0, v24
	s_cbranch_execz .LBB0_172
; %bb.171:
	v_mul_f32_e32 v1, 0xbfb8aa3b, v81
	s_mov_b32 s2, 0xade6db4a
	v_cmp_nlt_f32_e32 vcc_lo, 0x42ce8ed0, v81
	s_delay_alu instid0(VALU_DEP_2) | instskip(SKIP_1) | instid1(VALU_DEP_2)
	v_rndne_f32_e32 v2, v1
	v_fma_f32 v3, 0xbfb8aa3b, v81, -v1
	v_sub_f32_e32 v1, v1, v2
	s_delay_alu instid0(VALU_DEP_2) | instskip(SKIP_3) | instid1(VALU_DEP_3)
	v_fmamk_f32 v3, v81, 0xb2a5705f, v3
	s_wait_alu 0xfffe
	v_fmaak_f32 v0, s2, v6, 0x2fb22351
	v_cvt_i32_f32_e32 v2, v2
	v_add_f32_e32 v1, v1, v3
	v_add_f32_e32 v3, v81, v81
	s_delay_alu instid0(VALU_DEP_2) | instskip(NEXT) | instid1(TRANS32_DEP_1)
	v_exp_f32_e32 v1, v1
	v_ldexp_f32 v1, v1, v2
	s_wait_alu 0xfffd
	s_delay_alu instid0(VALU_DEP_1) | instskip(NEXT) | instid1(VALU_DEP_1)
	v_dual_fmaak_f32 v0, v6, v0, 0xb1786b26 :: v_dual_cndmask_b32 v1, 0, v1
	v_fmaak_f32 v0, v6, v0, 0x33218076
	v_cmp_ngt_f32_e32 vcc_lo, 0xc2b17218, v81
	s_delay_alu instid0(VALU_DEP_2) | instskip(NEXT) | instid1(VALU_DEP_1)
	v_fmaak_f32 v0, v6, v0, 0xb4bec7bc
	v_fmaak_f32 v0, v6, v0, 0x364ad720
	s_delay_alu instid0(VALU_DEP_1) | instskip(NEXT) | instid1(VALU_DEP_1)
	v_fmaak_f32 v0, v6, v0, 0xb7c01b80
	v_fmaak_f32 v0, v6, v0, 0x392011ae
	s_delay_alu instid0(VALU_DEP_1) | instskip(NEXT) | instid1(VALU_DEP_1)
	v_fmaak_f32 v0, v6, v0, 0xba67327d
	v_fmaak_f32 v0, v6, v0, 0x3b8df41e
	s_delay_alu instid0(VALU_DEP_1) | instskip(SKIP_2) | instid1(VALU_DEP_2)
	v_fmaak_f32 v2, v6, v0, 0xbc8f923b
	s_wait_alu 0xfffd
	v_cndmask_b32_e32 v0, 0x7f800000, v1, vcc_lo
	v_fmaak_f32 v1, v6, v2, 0x3d586f6b
	s_delay_alu instid0(VALU_DEP_1) | instskip(NEXT) | instid1(VALU_DEP_1)
	v_fmac_f32_e32 v0, v3, v1
	v_sub_f32_e32 v2, v0, v1
	s_delay_alu instid0(VALU_DEP_1) | instskip(NEXT) | instid1(VALU_DEP_1)
	v_div_scale_f32 v3, null, v2, v2, v1
	v_rcp_f32_e32 v5, v3
	s_delay_alu instid0(TRANS32_DEP_1) | instskip(NEXT) | instid1(VALU_DEP_1)
	v_fma_f32 v6, -v3, v5, 1.0
	v_fmac_f32_e32 v5, v6, v5
	v_div_scale_f32 v6, vcc_lo, v1, v2, v1
	s_delay_alu instid0(VALU_DEP_1) | instskip(NEXT) | instid1(VALU_DEP_1)
	v_mul_f32_e32 v7, v6, v5
	v_fma_f32 v81, -v3, v7, v6
	s_delay_alu instid0(VALU_DEP_1) | instskip(NEXT) | instid1(VALU_DEP_1)
	v_fmac_f32_e32 v7, v81, v5
	v_fma_f32 v3, -v3, v7, v6
	s_wait_alu 0xfffd
	s_delay_alu instid0(VALU_DEP_1) | instskip(NEXT) | instid1(VALU_DEP_1)
	v_div_fmas_f32 v3, v3, v5, v7
	v_div_fixup_f32 v1, v3, v2, v1
.LBB0_172:
	s_wait_alu 0xfffe
	s_or_b32 exec_lo, exec_lo, s1
	v_dual_mov_b32 v5, 0 :: v_dual_mov_b32 v2, 0
	v_mov_b32_e32 v3, 0
.LBB0_173:
	s_wait_alu 0xfffe
	s_or_b32 exec_lo, exec_lo, s0
	s_delay_alu instid0(SALU_CYCLE_1)
	s_or_b32 exec_lo, exec_lo, s3
                                        ; implicit-def: $vgpr81
.LBB0_174:
	s_wait_alu 0xfffe
	s_and_not1_saveexec_b32 s3, s7
	s_cbranch_execz .LBB0_365
.LBB0_175:
	v_add_f32_e32 v6, -2.0, v81
                                        ; implicit-def: $vgpr4
                                        ; implicit-def: $vgpr5
                                        ; implicit-def: $vgpr0
                                        ; implicit-def: $vgpr3
                                        ; implicit-def: $vgpr2
                                        ; implicit-def: $vgpr1
	s_mov_b32 s0, exec_lo
	v_cmpx_lt_i32_e32 0, v24
	s_wait_alu 0xfffe
	s_xor_b32 s7, exec_lo, s0
	s_cbranch_execz .LBB0_183
; %bb.176:
                                        ; implicit-def: $vgpr4
                                        ; implicit-def: $vgpr5
                                        ; implicit-def: $vgpr0
                                        ; implicit-def: $vgpr3
                                        ; implicit-def: $vgpr2
                                        ; implicit-def: $vgpr1
	s_mov_b32 s0, exec_lo
	v_cmpx_lt_i32_e32 1, v24
	s_wait_alu 0xfffe
	s_xor_b32 s8, exec_lo, s0
	s_cbranch_execz .LBB0_180
; %bb.177:
	v_dual_mov_b32 v4, 0 :: v_dual_mov_b32 v5, 0
	v_dual_mov_b32 v0, 0 :: v_dual_mov_b32 v3, 0
	;; [unrolled: 1-line block ×3, first 2 shown]
	s_mov_b32 s9, exec_lo
	v_cmpx_eq_u32_e32 2, v24
	s_cbranch_execz .LBB0_179
; %bb.178:
	v_mul_f32_e32 v2, 0xbfb8aa3b, v81
	s_mov_b32 s0, 0x2bcba156
	s_mov_b32 s1, 0xaf22c6bf
	s_wait_alu 0xfffe
	v_fmaak_f32 v0, s0, v6, 0x2caabff3
	s_mov_b32 s0, 0x303f4e21
	v_rndne_f32_e32 v5, v2
	v_fma_f32 v7, 0xbfb8aa3b, v81, -v2
	v_fmaak_f32 v1, s1, v6, 0x30f4db6f
	s_mov_b32 s1, 0xaf9ac11f
	v_cmp_nlt_f32_e32 vcc_lo, 0x42ce8ed0, v81
	s_wait_alu 0xfffe
	v_fmaak_f32 v4, s1, v6, 0x31781e01
	v_dual_sub_f32 v2, v2, v5 :: v_dual_fmamk_f32 v7, v81, 0xb2a5705f, v7
	v_fmaak_f32 v3, s0, v6, 0xb1b7ebe3
	v_cvt_i32_f32_e32 v5, v5
	s_delay_alu instid0(VALU_DEP_4) | instskip(NEXT) | instid1(VALU_DEP_4)
	v_fmaak_f32 v4, v6, v4, 0x3342d558
	v_add_f32_e32 v2, v2, v7
	s_delay_alu instid0(VALU_DEP_4) | instskip(NEXT) | instid1(VALU_DEP_3)
	v_fmaak_f32 v3, v6, v3, 0xb390da29
	v_fmaak_f32 v4, v6, v4, 0xb4175e0b
	s_delay_alu instid0(VALU_DEP_3) | instskip(NEXT) | instid1(VALU_DEP_2)
	v_exp_f32_e32 v2, v2
	v_fmaak_f32 v3, v6, v3, 0x35c9a4ee
	s_delay_alu instid0(VALU_DEP_2) | instskip(NEXT) | instid1(VALU_DEP_2)
	v_fmaak_f32 v4, v6, v4, 0xb6cb4b75
	v_fmaak_f32 v3, v6, v3, 0x3585304b
	s_delay_alu instid0(VALU_DEP_2) | instskip(NEXT) | instid1(TRANS32_DEP_1)
	v_fmaak_f32 v4, v6, v4, 0xb8586938
	v_ldexp_f32 v2, v2, v5
	s_delay_alu instid0(VALU_DEP_3) | instskip(SKIP_2) | instid1(VALU_DEP_3)
	v_fmaak_f32 v3, v6, v3, 0xb9cc067d
	v_fmaak_f32 v0, v6, v0, 0xb0341271
	s_wait_alu 0xfffd
	v_dual_fmaak_f32 v4, v6, v4, 0x380c68c0 :: v_dual_cndmask_b32 v5, 0, v2
	s_delay_alu instid0(VALU_DEP_3) | instskip(NEXT) | instid1(VALU_DEP_3)
	v_fmaak_f32 v3, v6, v3, 0x3bf64487
	v_fmaak_f32 v0, v6, v0, 0x32868327
	s_delay_alu instid0(VALU_DEP_3) | instskip(SKIP_1) | instid1(VALU_DEP_4)
	v_fmaak_f32 v4, v6, v4, 0x3d4ecb90
	v_cmp_ngt_f32_e32 vcc_lo, 0xc2b17218, v81
	v_fmaak_f32 v3, v6, v3, 0xbdadd46b
	s_delay_alu instid0(VALU_DEP_1) | instskip(SKIP_3) | instid1(VALU_DEP_2)
	v_fmaak_f32 v2, v6, v3, 0x3f12ecf6
	v_fmaak_f32 v1, v6, v1, 0xb2a55e4f
	v_dual_fmaak_f32 v3, v6, v4, 0xbf532020 :: v_dual_add_f32 v4, v81, v81
	v_fmaak_f32 v0, v6, v0, 0xb48ba6f7
	v_fmaak_f32 v3, v6, v3, 0x4099febe
	s_delay_alu instid0(VALU_DEP_4) | instskip(NEXT) | instid1(VALU_DEP_3)
	v_fmaak_f32 v1, v6, v1, 0x344f05bc
	v_fmaak_f32 v0, v6, v0, 0x36818f53
	s_delay_alu instid0(VALU_DEP_2) | instskip(NEXT) | instid1(VALU_DEP_2)
	v_dual_add_f32 v84, 1.0, v3 :: v_dual_fmaak_f32 v1, v6, v1, 0xb5e9477a
	v_fmaak_f32 v0, v6, v0, 0xb857593b
	s_delay_alu instid0(VALU_DEP_2) | instskip(NEXT) | instid1(VALU_DEP_3)
	v_div_scale_f32 v96, null, v84, v84, v3
	v_fmaak_f32 v1, v6, v1, 0x376987df
	s_delay_alu instid0(VALU_DEP_3) | instskip(NEXT) | instid1(VALU_DEP_3)
	v_fmaak_f32 v0, v6, v0, 0x3a1e1fb3
	v_rcp_f32_e32 v98, v96
	s_delay_alu instid0(VALU_DEP_2) | instskip(NEXT) | instid1(VALU_DEP_2)
	v_fmaak_f32 v1, v6, v1, 0xb8cc6214
	v_fmaak_f32 v0, v6, v0, 0xbbc848cc
	s_delay_alu instid0(VALU_DEP_2) | instskip(NEXT) | instid1(VALU_DEP_1)
	v_fmaak_f32 v1, v6, v1, 0x3a19038b
	v_fmaak_f32 v7, v6, v1, 0xbb3e0676
	s_delay_alu instid0(VALU_DEP_3) | instskip(NEXT) | instid1(VALU_DEP_2)
	v_fmaak_f32 v1, v6, v0, 0x3d396045
	v_fmaak_f32 v0, v6, v7, 0x3c3a86e5
	s_delay_alu instid0(VALU_DEP_1) | instskip(NEXT) | instid1(VALU_DEP_1)
	v_fmaak_f32 v0, v6, v0, 0xbd047be0
	v_fmaak_f32 v0, v6, v0, 0x3d58da91
	v_add_f32_e32 v6, 1.0, v2
	s_delay_alu instid0(VALU_DEP_1) | instskip(NEXT) | instid1(VALU_DEP_1)
	v_div_scale_f32 v83, null, v6, v6, v2
	v_rcp_f32_e32 v87, v83
	s_delay_alu instid0(TRANS32_DEP_1) | instskip(NEXT) | instid1(VALU_DEP_1)
	v_fma_f32 v100, -v83, v87, 1.0
	v_fmac_f32_e32 v87, v100, v87
	v_fma_f32 v100, -v96, v98, 1.0
	s_delay_alu instid0(VALU_DEP_1) | instskip(SKIP_1) | instid1(VALU_DEP_1)
	v_fmac_f32_e32 v98, v100, v98
	v_div_scale_f32 v100, s2, v3, v84, v3
	v_mul_f32_e32 v114, v100, v98
	s_delay_alu instid0(VALU_DEP_1) | instskip(SKIP_2) | instid1(VALU_DEP_2)
	v_fma_f32 v118, -v96, v114, v100
	s_wait_alu 0xfffd
	v_cndmask_b32_e32 v7, 0x7f800000, v5, vcc_lo
	v_dual_add_f32 v5, 1.0, v1 :: v_dual_fmac_f32 v114, v118, v98
	s_delay_alu instid0(VALU_DEP_2) | instskip(NEXT) | instid1(VALU_DEP_2)
	v_fma_f32 v81, v4, v0, v7
	v_div_scale_f32 v82, null, v5, v5, v1
	v_div_scale_f32 v99, s0, v1, v5, v1
	s_delay_alu instid0(VALU_DEP_3) | instskip(NEXT) | instid1(VALU_DEP_3)
	v_div_scale_f32 v85, null, 0x40400000, 0x40400000, v81
	v_rcp_f32_e32 v86, v82
	v_div_scale_f32 v103, vcc_lo, v81, 0x40400000, v81
	s_delay_alu instid0(VALU_DEP_2) | instskip(SKIP_1) | instid1(TRANS32_DEP_2)
	v_rcp_f32_e32 v97, v85
	v_fma_f32 v96, -v96, v114, v100
	v_fma_f32 v101, -v82, v86, 1.0
	s_delay_alu instid0(TRANS32_DEP_1) | instskip(NEXT) | instid1(VALU_DEP_2)
	v_fma_f32 v102, -v85, v97, 1.0
	v_fmac_f32_e32 v86, v101, v86
	v_div_scale_f32 v101, s1, v2, v6, v2
	s_delay_alu instid0(VALU_DEP_3) | instskip(NEXT) | instid1(VALU_DEP_2)
	v_fmac_f32_e32 v97, v102, v97
	v_dual_mul_f32 v113, v99, v86 :: v_dual_mul_f32 v102, v101, v87
	s_delay_alu instid0(VALU_DEP_2) | instskip(NEXT) | instid1(VALU_DEP_2)
	v_mul_f32_e32 v112, v103, v97
	v_fma_f32 v117, -v82, v113, v99
	s_delay_alu instid0(VALU_DEP_3) | instskip(NEXT) | instid1(VALU_DEP_3)
	v_fma_f32 v115, -v83, v102, v101
	v_fma_f32 v116, -v85, v112, v103
	s_delay_alu instid0(VALU_DEP_2) | instskip(NEXT) | instid1(VALU_DEP_2)
	v_dual_fmac_f32 v113, v117, v86 :: v_dual_fmac_f32 v102, v115, v87
	v_fmac_f32_e32 v112, v116, v97
	s_delay_alu instid0(VALU_DEP_2) | instskip(NEXT) | instid1(VALU_DEP_3)
	v_fma_f32 v82, -v82, v113, v99
	v_fma_f32 v83, -v83, v102, v101
	s_delay_alu instid0(VALU_DEP_3) | instskip(SKIP_1) | instid1(VALU_DEP_1)
	v_fma_f32 v85, -v85, v112, v103
	s_wait_alu 0xfffd
	v_div_fmas_f32 v85, v85, v97, v112
	s_mov_b32 vcc_lo, s0
	s_wait_alu 0xfffe
	v_div_fmas_f32 v82, v82, v86, v113
	s_mov_b32 vcc_lo, s1
	v_div_fixup_f32 v81, v85, 0x40400000, v81
	s_wait_alu 0xfffe
	v_div_fmas_f32 v83, v83, v87, v102
	s_mov_b32 vcc_lo, s2
	v_div_fixup_f32 v5, v82, v5, v1
	s_wait_alu 0xfffe
	v_div_fmas_f32 v85, v96, v98, v114
	v_fmac_f32_e32 v7, v4, v81
	v_div_fixup_f32 v6, v83, v6, v2
	v_fma_f32 v0, -v5, v81, v0
	s_delay_alu instid0(VALU_DEP_4) | instskip(NEXT) | instid1(VALU_DEP_4)
	v_div_fixup_f32 v4, v85, v84, v3
	v_fma_f32 v81, -v5, v7, v81
	s_delay_alu instid0(VALU_DEP_2) | instskip(SKIP_2) | instid1(VALU_DEP_4)
	v_sub_f32_e32 v82, v4, v6
	v_sub_f32_e32 v83, v4, v5
	;; [unrolled: 1-line block ×3, first 2 shown]
	v_fma_f32 v6, -v6, v81, v0
	v_fma_f32 v0, v4, v81, -v0
	s_delay_alu instid0(VALU_DEP_4) | instskip(NEXT) | instid1(VALU_DEP_4)
	v_mul_f32_e32 v83, v82, v83
	v_mul_f32_e32 v4, v82, v5
	s_delay_alu instid0(VALU_DEP_2) | instskip(NEXT) | instid1(VALU_DEP_2)
	v_div_scale_f32 v5, null, v83, v83, v6
	v_div_scale_f32 v81, null, v4, v4, v0
	v_div_scale_f32 v87, vcc_lo, v6, v83, v6
	s_delay_alu instid0(VALU_DEP_3) | instskip(NEXT) | instid1(VALU_DEP_2)
	v_rcp_f32_e32 v82, v5
	v_rcp_f32_e32 v84, v81
	s_delay_alu instid0(TRANS32_DEP_2) | instskip(NEXT) | instid1(TRANS32_DEP_1)
	v_fma_f32 v85, -v5, v82, 1.0
	v_fma_f32 v86, -v81, v84, 1.0
	s_delay_alu instid0(VALU_DEP_2) | instskip(SKIP_1) | instid1(VALU_DEP_3)
	v_fmac_f32_e32 v82, v85, v82
	v_div_scale_f32 v85, s0, v0, v4, v0
	v_fmac_f32_e32 v84, v86, v84
	s_delay_alu instid0(VALU_DEP_3) | instskip(NEXT) | instid1(VALU_DEP_2)
	v_mul_f32_e32 v86, v87, v82
	v_mul_f32_e32 v96, v85, v84
	s_delay_alu instid0(VALU_DEP_2) | instskip(NEXT) | instid1(VALU_DEP_2)
	v_fma_f32 v97, -v5, v86, v87
	v_fma_f32 v98, -v81, v96, v85
	s_delay_alu instid0(VALU_DEP_2) | instskip(NEXT) | instid1(VALU_DEP_2)
	v_fmac_f32_e32 v86, v97, v82
	v_fmac_f32_e32 v96, v98, v84
	s_delay_alu instid0(VALU_DEP_2) | instskip(NEXT) | instid1(VALU_DEP_2)
	v_fma_f32 v5, -v5, v86, v87
	v_fma_f32 v81, -v81, v96, v85
	s_wait_alu 0xfffd
	s_delay_alu instid0(VALU_DEP_2) | instskip(SKIP_3) | instid1(VALU_DEP_1)
	v_div_fmas_f32 v82, v5, v82, v86
	s_mov_b32 vcc_lo, s0
	s_wait_alu 0xfffe
	v_div_fmas_f32 v5, v81, v84, v96
	v_div_fixup_f32 v5, v5, v4, v0
	v_div_fixup_f32 v4, v82, v83, v6
	s_delay_alu instid0(VALU_DEP_2) | instskip(NEXT) | instid1(VALU_DEP_1)
	v_sub_f32_e32 v0, v7, v5
	v_sub_f32_e32 v0, v0, v4
.LBB0_179:
	s_wait_alu 0xfffe
	s_or_b32 exec_lo, exec_lo, s9
                                        ; implicit-def: $vgpr6
                                        ; implicit-def: $vgpr81
.LBB0_180:
	s_wait_alu 0xfffe
	s_and_not1_saveexec_b32 s0, s8
	s_cbranch_execz .LBB0_182
; %bb.181:
	v_mul_f32_e32 v1, 0xbfb8aa3b, v81
	s_mov_b32 s1, 0xaf31cb49
	v_cmp_nlt_f32_e32 vcc_lo, 0x42ce8ed0, v81
	s_mov_b32 s2, 0x2f1fcb23
	s_wait_alu 0xfffe
	v_fmaak_f32 v3, s2, v6, 0x310e536f
	v_rndne_f32_e32 v4, v1
	v_fma_f32 v5, 0xbfb8aa3b, v81, -v1
	v_fmaak_f32 v0, s1, v6, 0x3106d68d
	s_mov_b32 s1, 0xace01337
	v_fmaak_f32 v3, v6, v3, 0xb2a165e8
	v_sub_f32_e32 v1, v1, v4
	v_fmamk_f32 v5, v81, 0xb2a5705f, v5
	v_fmaak_f32 v0, v6, v0, 0xb2b806a8
	v_cvt_i32_f32_e32 v4, v4
	s_delay_alu instid0(VALU_DEP_2) | instskip(SKIP_1) | instid1(VALU_DEP_2)
	v_dual_add_f32 v1, v1, v5 :: v_dual_fmaak_f32 v0, v6, v0, 0x34693c08
	v_add_f32_e32 v5, v81, v81
	v_exp_f32_e32 v1, v1
	s_delay_alu instid0(TRANS32_DEP_1) | instskip(SKIP_1) | instid1(VALU_DEP_1)
	v_ldexp_f32 v1, v1, v4
	s_wait_alu 0xfffd
	v_dual_fmaak_f32 v0, v6, v0, 0xb6057233 :: v_dual_cndmask_b32 v1, 0, v1
	s_delay_alu instid0(VALU_DEP_1) | instskip(SKIP_1) | instid1(VALU_DEP_2)
	v_fmaak_f32 v0, v6, v0, 0x3788416e
	v_cmp_ngt_f32_e32 vcc_lo, 0xc2b17218, v81
	v_fmaak_f32 v0, v6, v0, 0xb8f4d278
	s_delay_alu instid0(VALU_DEP_1) | instskip(NEXT) | instid1(VALU_DEP_1)
	v_fmaak_f32 v0, v6, v0, 0x3a3e0676
	v_fmaak_f32 v0, v6, v0, 0xbb78b3dc
	s_delay_alu instid0(VALU_DEP_1) | instskip(NEXT) | instid1(VALU_DEP_1)
	v_fmaak_f32 v0, v6, v0, 0x3c847be0
	v_fmaak_f32 v0, v6, v0, 0xbd58da91
	s_delay_alu instid0(VALU_DEP_1) | instskip(SKIP_3) | instid1(VALU_DEP_1)
	v_fmaak_f32 v0, v6, v0, 0x3decf544
	s_wait_alu 0xfffd
	v_cndmask_b32_e32 v7, 0x7f800000, v1, vcc_lo
	s_wait_alu 0xfffe
	v_dual_fmaak_f32 v2, s1, v6, 0x2eba5957 :: v_dual_fmac_f32 v7, v5, v0
	s_delay_alu instid0(VALU_DEP_1) | instskip(SKIP_1) | instid1(VALU_DEP_2)
	v_fmaak_f32 v2, v6, v2, 0xb00d9f71
	v_fmaak_f32 v3, v6, v3, 0xb4394f7d
	;; [unrolled: 1-line block ×3, first 2 shown]
	s_delay_alu instid0(VALU_DEP_2) | instskip(NEXT) | instid1(VALU_DEP_2)
	v_fmaak_f32 v3, v6, v3, 0x3616d1dc
	v_fmaak_f32 v2, v6, v2, 0x33b5f0b5
	s_delay_alu instid0(VALU_DEP_2) | instskip(NEXT) | instid1(VALU_DEP_2)
	v_fmaak_f32 v3, v6, v3, 0x3723e08c
	v_fmaak_f32 v2, v6, v2, 0xb5f8b6ab
	;; [unrolled: 3-line block ×5, first 2 shown]
	s_delay_alu instid0(VALU_DEP_1) | instskip(NEXT) | instid1(VALU_DEP_3)
	v_fmaak_f32 v1, v6, v2, 0xbc85cca5
	v_fmaak_f32 v2, v6, v3, 0xbedc8cc8
	v_sub_f32_e32 v3, v0, v7
	s_delay_alu instid0(VALU_DEP_3) | instskip(NEXT) | instid1(VALU_DEP_3)
	v_fmaak_f32 v1, v6, v1, 0x3db1c8b1
	v_fmaak_f32 v2, v6, v2, 0x3fe6e9cb
	s_delay_alu instid0(VALU_DEP_2) | instskip(NEXT) | instid1(VALU_DEP_2)
	v_fmac_f32_e32 v0, v1, v3
	v_dual_add_f32 v4, 1.0, v2 :: v_dual_sub_f32 v3, v2, v1
	s_delay_alu instid0(VALU_DEP_1) | instskip(NEXT) | instid1(VALU_DEP_1)
	v_mul_f32_e32 v0, v4, v0
	v_div_scale_f32 v4, null, v3, v3, v0
	v_div_scale_f32 v81, vcc_lo, v0, v3, v0
	s_delay_alu instid0(VALU_DEP_2) | instskip(NEXT) | instid1(TRANS32_DEP_1)
	v_rcp_f32_e32 v5, v4
	v_fma_f32 v6, -v4, v5, 1.0
	s_delay_alu instid0(VALU_DEP_1) | instskip(NEXT) | instid1(VALU_DEP_1)
	v_fmac_f32_e32 v5, v6, v5
	v_mul_f32_e32 v6, v81, v5
	s_delay_alu instid0(VALU_DEP_1) | instskip(NEXT) | instid1(VALU_DEP_1)
	v_fma_f32 v82, -v4, v6, v81
	v_fmac_f32_e32 v6, v82, v5
	s_delay_alu instid0(VALU_DEP_1) | instskip(SKIP_1) | instid1(VALU_DEP_1)
	v_fma_f32 v4, -v4, v6, v81
	s_wait_alu 0xfffd
	v_div_fmas_f32 v4, v4, v5, v6
	s_delay_alu instid0(VALU_DEP_1) | instskip(SKIP_1) | instid1(VALU_DEP_2)
	v_div_fixup_f32 v5, v4, v3, v0
	v_dual_mov_b32 v4, 0 :: v_dual_mov_b32 v3, 0
	v_sub_f32_e32 v0, v7, v5
.LBB0_182:
	s_wait_alu 0xfffe
	s_or_b32 exec_lo, exec_lo, s0
                                        ; implicit-def: $vgpr6
                                        ; implicit-def: $vgpr81
.LBB0_183:
	s_wait_alu 0xfffe
	s_and_not1_saveexec_b32 s0, s7
	s_cbranch_execz .LBB0_187
; %bb.184:
	v_dual_mov_b32 v4, 0 :: v_dual_mov_b32 v1, 0
	v_mov_b32_e32 v0, 0
	s_mov_b32 s1, exec_lo
	v_cmpx_eq_u32_e32 0, v24
	s_cbranch_execz .LBB0_186
; %bb.185:
	v_mul_f32_e32 v1, 0xbfb8aa3b, v81
	s_mov_b32 s2, 0xaf31cb49
	v_cmp_nlt_f32_e32 vcc_lo, 0x42ce8ed0, v81
	s_delay_alu instid0(VALU_DEP_2) | instskip(SKIP_1) | instid1(VALU_DEP_2)
	v_rndne_f32_e32 v2, v1
	v_fma_f32 v3, 0xbfb8aa3b, v81, -v1
	v_sub_f32_e32 v1, v1, v2
	s_delay_alu instid0(VALU_DEP_2) | instskip(SKIP_3) | instid1(VALU_DEP_3)
	v_fmamk_f32 v3, v81, 0xb2a5705f, v3
	s_wait_alu 0xfffe
	v_fmaak_f32 v0, s2, v6, 0x3106d68d
	v_cvt_i32_f32_e32 v2, v2
	v_add_f32_e32 v1, v1, v3
	v_add_f32_e32 v3, v81, v81
	s_delay_alu instid0(VALU_DEP_2) | instskip(NEXT) | instid1(TRANS32_DEP_1)
	v_exp_f32_e32 v1, v1
	v_ldexp_f32 v1, v1, v2
	s_wait_alu 0xfffd
	s_delay_alu instid0(VALU_DEP_1) | instskip(NEXT) | instid1(VALU_DEP_1)
	v_dual_fmaak_f32 v0, v6, v0, 0xb2b806a8 :: v_dual_cndmask_b32 v1, 0, v1
	v_fmaak_f32 v0, v6, v0, 0x34693c08
	v_cmp_ngt_f32_e32 vcc_lo, 0xc2b17218, v81
	s_delay_alu instid0(VALU_DEP_2) | instskip(NEXT) | instid1(VALU_DEP_1)
	v_fmaak_f32 v0, v6, v0, 0xb6057233
	v_fmaak_f32 v0, v6, v0, 0x3788416e
	s_delay_alu instid0(VALU_DEP_1) | instskip(NEXT) | instid1(VALU_DEP_1)
	v_fmaak_f32 v0, v6, v0, 0xb8f4d278
	v_fmaak_f32 v0, v6, v0, 0x3a3e0676
	s_delay_alu instid0(VALU_DEP_1) | instskip(NEXT) | instid1(VALU_DEP_1)
	v_fmaak_f32 v0, v6, v0, 0xbb78b3dc
	v_fmaak_f32 v0, v6, v0, 0x3c847be0
	s_delay_alu instid0(VALU_DEP_1) | instskip(SKIP_2) | instid1(VALU_DEP_2)
	v_fmaak_f32 v2, v6, v0, 0xbd58da91
	s_wait_alu 0xfffd
	v_cndmask_b32_e32 v0, 0x7f800000, v1, vcc_lo
	v_fmaak_f32 v1, v6, v2, 0x3decf544
	s_delay_alu instid0(VALU_DEP_1) | instskip(NEXT) | instid1(VALU_DEP_1)
	v_fmac_f32_e32 v0, v3, v1
	v_sub_f32_e32 v2, v0, v1
	s_delay_alu instid0(VALU_DEP_1) | instskip(NEXT) | instid1(VALU_DEP_1)
	v_div_scale_f32 v3, null, v2, v2, v1
	v_rcp_f32_e32 v5, v3
	s_delay_alu instid0(TRANS32_DEP_1) | instskip(NEXT) | instid1(VALU_DEP_1)
	v_fma_f32 v6, -v3, v5, 1.0
	v_fmac_f32_e32 v5, v6, v5
	v_div_scale_f32 v6, vcc_lo, v1, v2, v1
	s_delay_alu instid0(VALU_DEP_1) | instskip(NEXT) | instid1(VALU_DEP_1)
	v_mul_f32_e32 v7, v6, v5
	v_fma_f32 v81, -v3, v7, v6
	s_delay_alu instid0(VALU_DEP_1) | instskip(NEXT) | instid1(VALU_DEP_1)
	v_fmac_f32_e32 v7, v81, v5
	v_fma_f32 v3, -v3, v7, v6
	s_wait_alu 0xfffd
	s_delay_alu instid0(VALU_DEP_1) | instskip(NEXT) | instid1(VALU_DEP_1)
	v_div_fmas_f32 v3, v3, v5, v7
	v_div_fixup_f32 v1, v3, v2, v1
.LBB0_186:
	s_wait_alu 0xfffe
	s_or_b32 exec_lo, exec_lo, s1
	v_dual_mov_b32 v5, 0 :: v_dual_mov_b32 v2, 0
	v_mov_b32_e32 v3, 0
.LBB0_187:
	s_wait_alu 0xfffe
	s_or_b32 exec_lo, exec_lo, s0
	s_delay_alu instid0(SALU_CYCLE_1)
	s_or_b32 exec_lo, exec_lo, s3
                                        ; implicit-def: $vgpr81
.LBB0_188:
	s_wait_alu 0xfffe
	s_and_not1_saveexec_b32 s3, s6
	s_cbranch_execz .LBB0_366
.LBB0_189:
                                        ; implicit-def: $vgpr4
                                        ; implicit-def: $vgpr5
                                        ; implicit-def: $vgpr0
                                        ; implicit-def: $vgpr3
                                        ; implicit-def: $vgpr2
                                        ; implicit-def: $vgpr1
	s_mov_b32 s0, exec_lo
	v_cmpx_lt_i32_e32 0, v24
	s_wait_alu 0xfffe
	s_xor_b32 s6, exec_lo, s0
	s_cbranch_execz .LBB0_197
; %bb.190:
                                        ; implicit-def: $vgpr4
                                        ; implicit-def: $vgpr5
                                        ; implicit-def: $vgpr0
                                        ; implicit-def: $vgpr3
                                        ; implicit-def: $vgpr2
                                        ; implicit-def: $vgpr1
	s_mov_b32 s0, exec_lo
	v_cmpx_lt_i32_e32 1, v24
	s_wait_alu 0xfffe
	s_xor_b32 s7, exec_lo, s0
	s_cbranch_execz .LBB0_194
; %bb.191:
	v_dual_mov_b32 v4, 0 :: v_dual_mov_b32 v5, 0
	v_dual_mov_b32 v0, 0 :: v_dual_mov_b32 v3, 0
	;; [unrolled: 1-line block ×3, first 2 shown]
	s_mov_b32 s8, exec_lo
	v_cmpx_eq_u32_e32 2, v24
	s_cbranch_execz .LBB0_193
; %bb.192:
	v_mul_f32_e32 v1, 0xbfb8aa3b, v81
	s_mov_b32 s0, 0xb3a3678d
	s_mov_b32 s1, 0xb00c3d32
	;; [unrolled: 1-line block ×3, first 2 shown]
	v_cmp_nlt_f32_e32 vcc_lo, 0x42ce8ed0, v81
	v_rndne_f32_e32 v3, v1
	v_fma_f32 v4, 0xbfb8aa3b, v81, -v1
	s_wait_alu 0xfffe
	v_fmaak_f32 v0, s0, v81, 0x35930a14
	s_mov_b32 s0, 0xb25ebb25
	v_dual_fmaak_f32 v6, s2, v81, 0xb4a28ea1 :: v_dual_sub_f32 v1, v1, v3
	v_fmamk_f32 v4, v81, 0xb2a5705f, v4
	v_fmaak_f32 v2, s1, v81, 0x32ce461e
	s_wait_alu 0xfffe
	v_fmaak_f32 v5, s0, v81, 0x33a65836
	v_cvt_i32_f32_e32 v3, v3
	v_fmaak_f32 v6, v81, v6, 0xb62843db
	v_add_f32_e32 v1, v1, v4
	v_fmaak_f32 v2, v81, v2, 0xb5068207
	v_fmaak_f32 v5, v81, v5, 0x35d16908
	s_delay_alu instid0(VALU_DEP_3) | instskip(NEXT) | instid1(VALU_DEP_2)
	v_exp_f32_e32 v1, v1
	v_fmaak_f32 v2, v81, v2, 0x36fe70ba
	s_delay_alu instid0(VALU_DEP_2) | instskip(NEXT) | instid1(VALU_DEP_2)
	v_fmaak_f32 v4, v81, v5, 0xb7849568
	v_fmaak_f32 v2, v81, v2, 0xb8c84bc4
	s_delay_alu instid0(VALU_DEP_2) | instskip(NEXT) | instid1(TRANS32_DEP_1)
	v_fmaak_f32 v4, v81, v4, 0xb9ad3ff4
	v_ldexp_f32 v1, v1, v3
	s_delay_alu instid0(VALU_DEP_3) | instskip(NEXT) | instid1(VALU_DEP_3)
	v_fmaak_f32 v2, v81, v2, 0x3a86dd2d
	v_fmaak_f32 v4, v81, v4, 0x3c1f9fb7
	;; [unrolled: 1-line block ×3, first 2 shown]
	s_delay_alu instid0(VALU_DEP_3) | instskip(SKIP_1) | instid1(VALU_DEP_3)
	v_fmaak_f32 v2, v81, v2, 0xbc182fe0
	s_wait_alu 0xfffd
	v_dual_fmaak_f32 v3, v81, v4, 0xbdf4c255 :: v_dual_cndmask_b32 v4, 0, v1
	s_delay_alu instid0(VALU_DEP_3)
	v_fmaak_f32 v5, v81, v5, 0x39800a51
	v_cmp_ngt_f32_e32 vcc_lo, 0xc2b17218, v81
	v_fmaak_f32 v1, v81, v2, 0x3d774dcb
	v_fmaak_f32 v0, v81, v0, 0xb72d9523
	;; [unrolled: 1-line block ×4, first 2 shown]
	s_delay_alu instid0(VALU_DEP_3) | instskip(NEXT) | instid1(VALU_DEP_2)
	v_dual_add_f32 v7, 1.0, v1 :: v_dual_fmaak_f32 v0, v81, v0, 0x38ab321b
	v_dual_add_f32 v82, 1.0, v2 :: v_dual_fmaak_f32 v5, v81, v5, 0xbf8334b6
	s_delay_alu instid0(VALU_DEP_2) | instskip(NEXT) | instid1(VALU_DEP_2)
	v_fmaak_f32 v0, v81, v0, 0xba11a0c3
	v_div_scale_f32 v86, null, v82, v82, v2
	s_delay_alu instid0(VALU_DEP_3) | instskip(NEXT) | instid1(VALU_DEP_3)
	v_fmaak_f32 v3, v81, v5, 0x40d535a8
	v_fmaak_f32 v0, v81, v0, 0x3b520d00
	s_delay_alu instid0(VALU_DEP_3) | instskip(NEXT) | instid1(VALU_DEP_2)
	v_rcp_f32_e32 v97, v86
	v_add_f32_e32 v84, 1.0, v3
	s_delay_alu instid0(VALU_DEP_2) | instskip(NEXT) | instid1(VALU_DEP_2)
	v_fmaak_f32 v0, v81, v0, 0xbc783e0e
	v_div_scale_f32 v87, null, v84, v84, v3
	s_delay_alu instid0(VALU_DEP_2) | instskip(NEXT) | instid1(TRANS32_DEP_1)
	v_fmaak_f32 v0, v81, v0, 0x3d638e39
	v_fma_f32 v102, -v86, v97, 1.0
	s_delay_alu instid0(VALU_DEP_3) | instskip(NEXT) | instid1(VALU_DEP_1)
	v_rcp_f32_e32 v98, v87
	v_dual_fmaak_f32 v0, v81, v0, 0xbe124925 :: v_dual_fmac_f32 v97, v102, v97
	s_wait_alu 0xfffd
	v_cndmask_b32_e32 v6, 0x7f800000, v4, vcc_lo
	v_add_f32_e32 v4, v81, v81
	v_div_scale_f32 v102, s2, v3, v84, v3
	v_fmaak_f32 v0, v81, v0, 0x3e4ccccd
	v_div_scale_f32 v81, null, v7, v7, v1
	s_delay_alu instid0(TRANS32_DEP_1) | instskip(NEXT) | instid1(VALU_DEP_3)
	v_fma_f32 v103, -v87, v98, 1.0
	v_fma_f32 v5, v4, v0, v6
	s_delay_alu instid0(VALU_DEP_3) | instskip(NEXT) | instid1(VALU_DEP_2)
	v_rcp_f32_e32 v85, v81
	v_fmac_f32_e32 v98, v103, v98
	s_delay_alu instid0(VALU_DEP_2) | instskip(SKIP_1) | instid1(VALU_DEP_3)
	v_div_scale_f32 v83, null, 0x40400000, 0x40400000, v5
	v_div_scale_f32 v101, vcc_lo, v5, 0x40400000, v5
	v_mul_f32_e32 v114, v102, v98
	s_delay_alu instid0(VALU_DEP_3) | instskip(NEXT) | instid1(TRANS32_DEP_2)
	v_rcp_f32_e32 v96, v83
	v_fma_f32 v99, -v81, v85, 1.0
	s_delay_alu instid0(VALU_DEP_2) | instskip(NEXT) | instid1(VALU_DEP_2)
	v_fma_f32 v118, -v87, v114, v102
	v_fmac_f32_e32 v85, v99, v85
	v_div_scale_f32 v99, s0, v1, v7, v1
	s_delay_alu instid0(VALU_DEP_3) | instskip(NEXT) | instid1(TRANS32_DEP_1)
	v_fmac_f32_e32 v114, v118, v98
	v_fma_f32 v100, -v83, v96, 1.0
	s_delay_alu instid0(VALU_DEP_3) | instskip(NEXT) | instid1(VALU_DEP_3)
	v_mul_f32_e32 v112, v99, v85
	v_fma_f32 v87, -v87, v114, v102
	s_delay_alu instid0(VALU_DEP_3) | instskip(SKIP_1) | instid1(VALU_DEP_4)
	v_fmac_f32_e32 v96, v100, v96
	v_div_scale_f32 v100, s1, v2, v82, v2
	v_fma_f32 v116, -v81, v112, v99
	s_delay_alu instid0(VALU_DEP_3) | instskip(NEXT) | instid1(VALU_DEP_3)
	v_mul_f32_e32 v103, v101, v96
	v_mul_f32_e32 v113, v100, v97
	s_delay_alu instid0(VALU_DEP_3) | instskip(NEXT) | instid1(VALU_DEP_3)
	v_fmac_f32_e32 v112, v116, v85
	v_fma_f32 v115, -v83, v103, v101
	s_delay_alu instid0(VALU_DEP_3) | instskip(NEXT) | instid1(VALU_DEP_3)
	v_fma_f32 v117, -v86, v113, v100
	v_fma_f32 v81, -v81, v112, v99
	s_delay_alu instid0(VALU_DEP_3) | instskip(NEXT) | instid1(VALU_DEP_3)
	v_fmac_f32_e32 v103, v115, v96
	v_fmac_f32_e32 v113, v117, v97
	s_delay_alu instid0(VALU_DEP_2) | instskip(NEXT) | instid1(VALU_DEP_2)
	v_fma_f32 v83, -v83, v103, v101
	v_fma_f32 v86, -v86, v113, v100
	s_wait_alu 0xfffd
	s_delay_alu instid0(VALU_DEP_2)
	v_div_fmas_f32 v83, v83, v96, v103
	s_mov_b32 vcc_lo, s0
	s_wait_alu 0xfffe
	v_div_fmas_f32 v81, v81, v85, v112
	s_mov_b32 vcc_lo, s1
	v_div_fixup_f32 v5, v83, 0x40400000, v5
	s_wait_alu 0xfffe
	v_div_fmas_f32 v85, v86, v97, v113
	s_mov_b32 vcc_lo, s2
	v_div_fixup_f32 v7, v81, v7, v1
	s_wait_alu 0xfffe
	v_div_fmas_f32 v83, v87, v98, v114
	v_div_fixup_f32 v81, v85, v82, v2
	v_fmac_f32_e32 v6, v4, v5
	v_fma_f32 v0, -v7, v5, v0
	s_delay_alu instid0(VALU_DEP_4) | instskip(NEXT) | instid1(VALU_DEP_3)
	v_div_fixup_f32 v4, v83, v84, v3
	v_fma_f32 v5, -v7, v6, v5
	s_delay_alu instid0(VALU_DEP_2) | instskip(SKIP_2) | instid1(VALU_DEP_4)
	v_sub_f32_e32 v82, v4, v81
	v_sub_f32_e32 v83, v4, v7
	;; [unrolled: 1-line block ×3, first 2 shown]
	v_fma_f32 v81, -v81, v5, v0
	v_fma_f32 v0, v4, v5, -v0
	s_delay_alu instid0(VALU_DEP_4) | instskip(NEXT) | instid1(VALU_DEP_4)
	v_mul_f32_e32 v83, v82, v83
	v_mul_f32_e32 v4, v82, v7
	s_delay_alu instid0(VALU_DEP_2) | instskip(NEXT) | instid1(VALU_DEP_2)
	v_div_scale_f32 v5, null, v83, v83, v81
	v_div_scale_f32 v7, null, v4, v4, v0
	v_div_scale_f32 v87, vcc_lo, v81, v83, v81
	s_delay_alu instid0(VALU_DEP_3) | instskip(NEXT) | instid1(VALU_DEP_2)
	v_rcp_f32_e32 v82, v5
	v_rcp_f32_e32 v84, v7
	s_delay_alu instid0(TRANS32_DEP_2) | instskip(NEXT) | instid1(TRANS32_DEP_1)
	v_fma_f32 v85, -v5, v82, 1.0
	v_fma_f32 v86, -v7, v84, 1.0
	s_delay_alu instid0(VALU_DEP_2) | instskip(SKIP_1) | instid1(VALU_DEP_3)
	v_fmac_f32_e32 v82, v85, v82
	v_div_scale_f32 v85, s0, v0, v4, v0
	v_fmac_f32_e32 v84, v86, v84
	s_delay_alu instid0(VALU_DEP_3) | instskip(NEXT) | instid1(VALU_DEP_2)
	v_mul_f32_e32 v86, v87, v82
	v_mul_f32_e32 v96, v85, v84
	s_delay_alu instid0(VALU_DEP_2) | instskip(NEXT) | instid1(VALU_DEP_2)
	v_fma_f32 v97, -v5, v86, v87
	v_fma_f32 v98, -v7, v96, v85
	s_delay_alu instid0(VALU_DEP_2) | instskip(NEXT) | instid1(VALU_DEP_2)
	v_fmac_f32_e32 v86, v97, v82
	v_fmac_f32_e32 v96, v98, v84
	s_delay_alu instid0(VALU_DEP_2) | instskip(NEXT) | instid1(VALU_DEP_2)
	v_fma_f32 v5, -v5, v86, v87
	v_fma_f32 v7, -v7, v96, v85
	s_wait_alu 0xfffd
	s_delay_alu instid0(VALU_DEP_2) | instskip(SKIP_3) | instid1(VALU_DEP_1)
	v_div_fmas_f32 v82, v5, v82, v86
	s_mov_b32 vcc_lo, s0
	s_wait_alu 0xfffe
	v_div_fmas_f32 v5, v7, v84, v96
	v_div_fixup_f32 v5, v5, v4, v0
	v_div_fixup_f32 v4, v82, v83, v81
	s_delay_alu instid0(VALU_DEP_2) | instskip(NEXT) | instid1(VALU_DEP_1)
	v_sub_f32_e32 v0, v6, v5
	v_sub_f32_e32 v0, v0, v4
.LBB0_193:
	s_wait_alu 0xfffe
	s_or_b32 exec_lo, exec_lo, s8
                                        ; implicit-def: $vgpr81
.LBB0_194:
	s_wait_alu 0xfffe
	s_and_not1_saveexec_b32 s0, s7
	s_cbranch_execz .LBB0_196
; %bb.195:
	v_mul_f32_e32 v0, 0xbfb8aa3b, v81
	s_mov_b32 s1, 0xb3b398d8
	v_cmp_nlt_f32_e32 vcc_lo, 0x42ce8ed0, v81
	s_mov_b32 s2, 0xb2d484ea
	s_wait_alu 0xfffe
	v_fmaak_f32 v5, s2, v81, 0x347e45d0
	v_rndne_f32_e32 v2, v0
	v_fmaak_f32 v1, s1, v81, 0x35a2b3c5
	v_fma_f32 v3, 0xbfb8aa3b, v81, -v0
	s_mov_b32 s1, 0xb121a6de
	s_delay_alu instid0(VALU_DEP_3)
	v_sub_f32_e32 v0, v0, v2
	s_wait_alu 0xfffe
	v_fmaak_f32 v4, s1, v81, 0x32d609dd
	v_fmamk_f32 v3, v81, 0xb2a5705f, v3
	v_fmaak_f32 v1, v81, v1, 0xb7420cb6
	v_cvt_i32_f32_e32 v2, v2
	s_delay_alu instid0(VALU_DEP_2) | instskip(SKIP_2) | instid1(VALU_DEP_3)
	v_dual_add_f32 v0, v0, v3 :: v_dual_fmaak_f32 v1, v81, v1, 0x38c20728
	v_fmaak_f32 v3, v81, v4, 0xb343c735
	v_fmaak_f32 v4, v81, v5, 0x35f656c1
	v_exp_f32_e32 v0, v0
	s_delay_alu instid0(VALU_DEP_3) | instskip(NEXT) | instid1(VALU_DEP_3)
	v_fmaak_f32 v1, v81, v1, 0xba280863
	v_fmaak_f32 v3, v81, v3, 0xb6243b79
	s_delay_alu instid0(VALU_DEP_3) | instskip(NEXT) | instid1(VALU_DEP_3)
	v_fmaak_f32 v4, v81, v4, 0xb7ad52a3
	v_fmaak_f32 v1, v81, v1, 0x3b783dec
	;; [unrolled: 3-line block ×3, first 2 shown]
	s_delay_alu instid0(TRANS32_DEP_1) | instskip(NEXT) | instid1(VALU_DEP_4)
	v_ldexp_f32 v0, v0, v2
	v_fmaak_f32 v1, v81, v1, 0xbc97b425
	s_delay_alu instid0(VALU_DEP_4) | instskip(NEXT) | instid1(VALU_DEP_4)
	v_fmaak_f32 v2, v81, v3, 0xba0bc56c
	v_fmaak_f32 v3, v81, v4, 0xb876b098
	s_wait_alu 0xfffd
	s_delay_alu instid0(VALU_DEP_3)
	v_dual_cndmask_b32 v0, 0, v0 :: v_dual_fmaak_f32 v1, v81, v1, 0x3d924925
	v_cmp_ngt_f32_e32 vcc_lo, 0xc2b17218, v81
	v_add_f32_e32 v5, v81, v81
	v_fmaak_f32 v2, v81, v2, 0x3b91b45c
	v_fmaak_f32 v3, v81, v3, 0x3d5a3552
	;; [unrolled: 1-line block ×3, first 2 shown]
	s_wait_alu 0xfffd
	v_cndmask_b32_e32 v0, 0x7f800000, v0, vcc_lo
	s_delay_alu instid0(VALU_DEP_2) | instskip(SKIP_2) | instid1(VALU_DEP_3)
	v_fmaak_f32 v4, v81, v1, 0x3eaaaaab
	v_fmaak_f32 v1, v81, v2, 0xbcedeba3
	;; [unrolled: 1-line block ×3, first 2 shown]
	v_fmac_f32_e32 v0, v5, v4
	s_delay_alu instid0(VALU_DEP_3) | instskip(NEXT) | instid1(VALU_DEP_2)
	v_fmaak_f32 v1, v81, v1, 0x3e05d48b
	v_dual_fmaak_f32 v2, v81, v2, 0x4037a2b7 :: v_dual_sub_f32 v3, v4, v0
	s_delay_alu instid0(VALU_DEP_1) | instskip(NEXT) | instid1(VALU_DEP_1)
	v_dual_add_f32 v5, 1.0, v2 :: v_dual_fmac_f32 v4, v1, v3
	v_dual_sub_f32 v3, v2, v1 :: v_dual_mul_f32 v4, v5, v4
	s_delay_alu instid0(VALU_DEP_1) | instskip(SKIP_1) | instid1(VALU_DEP_2)
	v_div_scale_f32 v5, null, v3, v3, v4
	v_div_scale_f32 v81, vcc_lo, v4, v3, v4
	v_rcp_f32_e32 v6, v5
	s_delay_alu instid0(TRANS32_DEP_1) | instskip(NEXT) | instid1(VALU_DEP_1)
	v_fma_f32 v7, -v5, v6, 1.0
	v_fmac_f32_e32 v6, v7, v6
	s_delay_alu instid0(VALU_DEP_1) | instskip(NEXT) | instid1(VALU_DEP_1)
	v_mul_f32_e32 v7, v81, v6
	v_fma_f32 v82, -v5, v7, v81
	s_delay_alu instid0(VALU_DEP_1) | instskip(NEXT) | instid1(VALU_DEP_1)
	v_fmac_f32_e32 v7, v82, v6
	v_fma_f32 v5, -v5, v7, v81
	s_wait_alu 0xfffd
	s_delay_alu instid0(VALU_DEP_1) | instskip(NEXT) | instid1(VALU_DEP_1)
	v_div_fmas_f32 v5, v5, v6, v7
	v_div_fixup_f32 v5, v5, v3, v4
	v_dual_mov_b32 v4, 0 :: v_dual_mov_b32 v3, 0
	s_delay_alu instid0(VALU_DEP_2)
	v_sub_f32_e32 v0, v0, v5
.LBB0_196:
	s_wait_alu 0xfffe
	s_or_b32 exec_lo, exec_lo, s0
                                        ; implicit-def: $vgpr81
.LBB0_197:
	s_wait_alu 0xfffe
	s_and_not1_saveexec_b32 s0, s6
	s_cbranch_execz .LBB0_201
; %bb.198:
	v_dual_mov_b32 v4, 0 :: v_dual_mov_b32 v1, 0
	v_mov_b32_e32 v0, 0
	s_mov_b32 s1, exec_lo
	v_cmpx_eq_u32_e32 0, v24
	s_cbranch_execz .LBB0_200
; %bb.199:
	v_mul_f32_e32 v0, 0xbfb8aa3b, v81
	s_mov_b32 s2, 0xb3b398d8
	v_cmp_nlt_f32_e32 vcc_lo, 0x42ce8ed0, v81
	s_delay_alu instid0(VALU_DEP_2) | instskip(SKIP_3) | instid1(VALU_DEP_3)
	v_rndne_f32_e32 v2, v0
	s_wait_alu 0xfffe
	v_fmaak_f32 v1, s2, v81, 0x35a2b3c5
	v_fma_f32 v3, 0xbfb8aa3b, v81, -v0
	v_sub_f32_e32 v0, v0, v2
	v_cvt_i32_f32_e32 v2, v2
	s_delay_alu instid0(VALU_DEP_3) | instskip(NEXT) | instid1(VALU_DEP_1)
	v_fmamk_f32 v3, v81, 0xb2a5705f, v3
	v_dual_fmaak_f32 v1, v81, v1, 0xb7420cb6 :: v_dual_add_f32 v0, v0, v3
	s_delay_alu instid0(VALU_DEP_1) | instskip(NEXT) | instid1(VALU_DEP_2)
	v_fmaak_f32 v1, v81, v1, 0x38c20728
	v_exp_f32_e32 v0, v0
	s_delay_alu instid0(VALU_DEP_1) | instskip(NEXT) | instid1(VALU_DEP_1)
	v_fmaak_f32 v1, v81, v1, 0xba280863
	v_fmaak_f32 v1, v81, v1, 0x3b783dec
	s_delay_alu instid0(TRANS32_DEP_1) | instskip(NEXT) | instid1(VALU_DEP_2)
	v_ldexp_f32 v0, v0, v2
	v_fmaak_f32 v1, v81, v1, 0xbc97b425
	v_add_f32_e32 v2, v81, v81
	s_wait_alu 0xfffd
	s_delay_alu instid0(VALU_DEP_2) | instskip(SKIP_1) | instid1(VALU_DEP_2)
	v_dual_cndmask_b32 v0, 0, v0 :: v_dual_fmaak_f32 v1, v81, v1, 0x3d924925
	v_cmp_ngt_f32_e32 vcc_lo, 0xc2b17218, v81
	v_fmaak_f32 v1, v81, v1, 0xbe4ccccd
	s_wait_alu 0xfffd
	s_delay_alu instid0(VALU_DEP_3) | instskip(NEXT) | instid1(VALU_DEP_2)
	v_cndmask_b32_e32 v0, 0x7f800000, v0, vcc_lo
	v_fmaak_f32 v1, v81, v1, 0x3eaaaaab
	s_delay_alu instid0(VALU_DEP_1) | instskip(NEXT) | instid1(VALU_DEP_1)
	v_fmac_f32_e32 v0, v2, v1
	v_sub_f32_e32 v2, v0, v1
	s_delay_alu instid0(VALU_DEP_1) | instskip(NEXT) | instid1(VALU_DEP_1)
	v_div_scale_f32 v3, null, v2, v2, v1
	v_rcp_f32_e32 v5, v3
	s_delay_alu instid0(TRANS32_DEP_1) | instskip(NEXT) | instid1(VALU_DEP_1)
	v_fma_f32 v6, -v3, v5, 1.0
	v_fmac_f32_e32 v5, v6, v5
	v_div_scale_f32 v6, vcc_lo, v1, v2, v1
	s_delay_alu instid0(VALU_DEP_1) | instskip(NEXT) | instid1(VALU_DEP_1)
	v_mul_f32_e32 v7, v6, v5
	v_fma_f32 v81, -v3, v7, v6
	s_delay_alu instid0(VALU_DEP_1) | instskip(NEXT) | instid1(VALU_DEP_1)
	v_fmac_f32_e32 v7, v81, v5
	v_fma_f32 v3, -v3, v7, v6
	s_wait_alu 0xfffd
	s_delay_alu instid0(VALU_DEP_1) | instskip(NEXT) | instid1(VALU_DEP_1)
	v_div_fmas_f32 v3, v3, v5, v7
	v_div_fixup_f32 v1, v3, v2, v1
.LBB0_200:
	s_wait_alu 0xfffe
	s_or_b32 exec_lo, exec_lo, s1
	v_dual_mov_b32 v5, 0 :: v_dual_mov_b32 v2, 0
	v_mov_b32_e32 v3, 0
.LBB0_201:
	s_wait_alu 0xfffe
	s_or_b32 exec_lo, exec_lo, s0
	s_delay_alu instid0(SALU_CYCLE_1)
	s_or_b32 exec_lo, exec_lo, s3
                                        ; implicit-def: $vgpr81
.LBB0_202:
	s_wait_alu 0xfffe
	s_and_not1_saveexec_b32 s1, s5
	s_cbranch_execz .LBB0_216
.LBB0_203:
	s_mov_b32 s0, exec_lo
                                        ; implicit-def: $vgpr4
                                        ; implicit-def: $vgpr5
                                        ; implicit-def: $vgpr0
                                        ; implicit-def: $vgpr3
                                        ; implicit-def: $vgpr2
                                        ; implicit-def: $vgpr1
	v_cmpx_lt_i32_e32 0, v24
	s_wait_alu 0xfffe
	s_xor_b32 s0, exec_lo, s0
	s_cbranch_execz .LBB0_211
; %bb.204:
	s_mov_b32 s2, exec_lo
                                        ; implicit-def: $vgpr4
                                        ; implicit-def: $vgpr5
                                        ; implicit-def: $vgpr0
                                        ; implicit-def: $vgpr3
                                        ; implicit-def: $vgpr2
                                        ; implicit-def: $vgpr1
	v_cmpx_lt_i32_e32 1, v24
	s_wait_alu 0xfffe
	s_xor_b32 s2, exec_lo, s2
	s_cbranch_execz .LBB0_208
; %bb.205:
	v_dual_mov_b32 v4, 0 :: v_dual_mov_b32 v5, 0
	v_dual_mov_b32 v0, 0 :: v_dual_mov_b32 v3, 0
	;; [unrolled: 1-line block ×3, first 2 shown]
	s_mov_b32 s3, exec_lo
	v_cmpx_eq_u32_e32 2, v24
	s_cbranch_execz .LBB0_207
; %bb.206:
	s_mov_b32 s5, 0xbc182fe0
	s_mov_b32 s6, 0xbdf4c255
	s_wait_alu 0xfffe
	v_fmaak_f32 v1, s5, v81, 0x3d774dcb
	v_fmaak_f32 v2, s6, v81, 0x3f46dde5
	s_mov_b32 s5, 0xbf8334b6
	s_mov_b32 s6, 0xbd675fa3
	s_wait_alu 0xfffe
	v_fmaak_f32 v3, s5, v81, 0x40d535a8
	v_fmaak_f32 v0, s6, v81, 0x3eef926a
	;; [unrolled: 5-line block ×3, first 2 shown]
.LBB0_207:
	s_wait_alu 0xfffe
	s_or_b32 exec_lo, exec_lo, s3
                                        ; implicit-def: $vgpr81
.LBB0_208:
	s_wait_alu 0xfffe
	s_and_not1_saveexec_b32 s2, s2
; %bb.209:
	s_mov_b32 s3, 0xbcedeba3
	s_mov_b32 s5, 0xbf233b4e
	s_wait_alu 0xfffe
	v_dual_fmaak_f32 v1, s3, v81, 0x3e05d48b :: v_dual_mov_b32 v4, 0
	v_dual_fmaak_f32 v2, s5, v81, 0x4037a2b7 :: v_dual_mov_b32 v3, 0
	s_mov_b32 s3, 0xbdfb5148
	s_mov_b32 s5, 0xbe57acb2
	s_wait_alu 0xfffe
	v_fmaak_f32 v0, s3, v81, 0x3f26f2fc
	v_fmaak_f32 v5, s5, v81, 0x3eb21a08
; %bb.210:
	s_or_b32 exec_lo, exec_lo, s2
                                        ; implicit-def: $vgpr81
.LBB0_211:
	s_wait_alu 0xfffe
	s_and_not1_saveexec_b32 s2, s0
	s_cbranch_execz .LBB0_215
; %bb.212:
	v_dual_mov_b32 v4, 0 :: v_dual_mov_b32 v1, 0
	v_mov_b32_e32 v0, 0
	s_mov_b32 s3, exec_lo
	v_cmpx_eq_u32_e32 0, v24
	s_cbranch_execz .LBB0_214
; %bb.213:
	v_div_scale_f32 v0, null, 0xc0a00000, 0xc0a00000, v81
	v_div_scale_f32 v1, null, 0xc0400000, 0xc0400000, v81
	v_div_scale_f32 v7, vcc_lo, v81, 0xc0a00000, v81
	s_delay_alu instid0(VALU_DEP_3) | instskip(NEXT) | instid1(VALU_DEP_2)
	v_rcp_f32_e32 v2, v0
	v_rcp_f32_e32 v3, v1
	s_delay_alu instid0(TRANS32_DEP_2) | instskip(NEXT) | instid1(TRANS32_DEP_1)
	v_fma_f32 v5, -v0, v2, 1.0
	v_fma_f32 v6, -v1, v3, 1.0
	s_delay_alu instid0(VALU_DEP_1) | instskip(SKIP_1) | instid1(VALU_DEP_2)
	v_dual_fmac_f32 v2, v5, v2 :: v_dual_fmac_f32 v3, v6, v3
	v_div_scale_f32 v5, s0, v81, 0xc0400000, v81
	v_mul_f32_e32 v6, v7, v2
	s_delay_alu instid0(VALU_DEP_2) | instskip(NEXT) | instid1(VALU_DEP_2)
	v_mul_f32_e32 v82, v5, v3
	v_fma_f32 v83, -v0, v6, v7
	s_delay_alu instid0(VALU_DEP_2) | instskip(NEXT) | instid1(VALU_DEP_2)
	v_fma_f32 v84, -v1, v82, v5
	v_fmac_f32_e32 v6, v83, v2
	s_delay_alu instid0(VALU_DEP_2) | instskip(NEXT) | instid1(VALU_DEP_2)
	v_fmac_f32_e32 v82, v84, v3
	v_fma_f32 v0, -v0, v6, v7
	s_delay_alu instid0(VALU_DEP_2) | instskip(SKIP_1) | instid1(VALU_DEP_2)
	v_fma_f32 v1, -v1, v82, v5
	s_wait_alu 0xfffd
	v_div_fmas_f32 v0, v0, v2, v6
	s_mov_b32 vcc_lo, s0
	s_wait_alu 0xfffe
	v_div_fmas_f32 v1, v1, v3, v82
	s_delay_alu instid0(VALU_DEP_2) | instskip(NEXT) | instid1(VALU_DEP_2)
	v_div_fixup_f32 v0, v0, 0xc0a00000, v81
	v_div_fixup_f32 v2, v1, 0xc0400000, v81
	s_delay_alu instid0(VALU_DEP_1)
	v_dual_add_f32 v1, 0.5, v0 :: v_dual_add_f32 v0, 1.0, v2
.LBB0_214:
	s_wait_alu 0xfffe
	s_or_b32 exec_lo, exec_lo, s3
	v_dual_mov_b32 v5, 0 :: v_dual_mov_b32 v2, 0
	v_mov_b32_e32 v3, 0
.LBB0_215:
	s_wait_alu 0xfffe
	s_or_b32 exec_lo, exec_lo, s2
.LBB0_216:
	s_wait_alu 0xfffe
	s_or_b32 exec_lo, exec_lo, s1
	s_delay_alu instid0(SALU_CYCLE_1)
	s_mov_b32 s0, exec_lo
	s_clause 0x1
	scratch_store_b32 off, v1, s32
	scratch_store_b32 off, v0, s32 offset:32
	v_cmpx_lt_i32_e32 1, v80
	s_cbranch_execz .LBB0_218
; %bb.217:
	s_clause 0x1
	scratch_store_b32 off, v2, s32 offset:4
	scratch_store_b32 off, v5, s32 offset:36
.LBB0_218:
	s_wait_alu 0xfffe
	s_or_b32 exec_lo, exec_lo, s0
	s_delay_alu instid0(SALU_CYCLE_1)
	s_mov_b32 s0, exec_lo
	v_cmpx_lt_i32_e32 3, v80
	s_cbranch_execz .LBB0_220
; %bb.219:
	s_clause 0x1
	scratch_store_b32 off, v3, s32 offset:8
	scratch_store_b32 off, v4, s32 offset:40
.LBB0_220:
	s_wait_alu 0xfffe
	s_or_b32 exec_lo, exec_lo, s0
.LBB0_221:
	s_wait_alu 0xfffe
	s_or_b32 exec_lo, exec_lo, s4
	v_mov_b32_e32 v0, 0
	s_mov_b32 s45, exec_lo
	v_cmpx_lt_i32_e32 -2, v80
	s_cbranch_execz .LBB0_363
; %bb.222:
	v_div_scale_f32 v3, null, v32, v32, 0.5
	v_div_scale_f32 v2, null, v30, v30, 0.5
	v_mul_f32_e64 v4, v65, -v66
	s_delay_alu instid0(VALU_DEP_3) | instskip(SKIP_1) | instid1(VALU_DEP_2)
	v_rcp_f32_e32 v7, v3
	s_add_co_i32 s47, s32, 0x5c
	v_rcp_f32_e32 v6, v2
	v_cmp_lt_u32_e64 s8, 1, v13
	v_div_scale_f32 v65, null, v30, v30, v4
	v_cmp_lt_i32_e64 s14, -1, v16
	v_cmp_lt_i32_e64 s15, -1, v9
	v_cmp_lt_i32_e64 s16, 1, v9
	v_cmp_lt_u32_e64 s18, 1, v16
	s_delay_alu instid0(TRANS32_DEP_2)
	v_fma_f32 v80, -v3, v7, 1.0
	v_mul_f32_e32 v0, v67, v68
	v_rcp_f32_e32 v67, v65
	v_fma_f32 v1, -v2, v6, 1.0
	v_div_scale_f32 v68, s0, 0.5, v30, 0.5
	v_fmac_f32_e32 v7, v80, v7
	v_div_scale_f32 v5, null, v32, v32, v0
	v_div_scale_f32 v80, s1, 0.5, v32, 0.5
	v_fmac_f32_e32 v6, v1, v6
	s_delay_alu instid0(VALU_DEP_3) | instskip(SKIP_1) | instid1(VALU_DEP_3)
	v_rcp_f32_e32 v66, v5
	v_div_scale_f32 v82, vcc_lo, v0, v32, v0
	v_mul_f32_e32 v85, v80, v7
	v_fma_f32 v1, -v65, v67, 1.0
	v_cmp_lt_i32_e64 s24, -1, v17
	v_cmp_lt_i32_e64 s25, -1, v12
	v_cmp_lt_i32_e64 s26, 1, v12
	v_fma_f32 v96, -v3, v85, v80
	v_cmp_lt_u32_e64 s28, 1, v17
	s_delay_alu instid0(TRANS32_DEP_1)
	v_fma_f32 v81, -v5, v66, 1.0
	s_mov_b32 s46, 0
	s_mov_b32 s61, 0x3e76c4e1
	v_fmac_f32_e32 v85, v96, v7
	s_mov_b32 s62, 0
	v_fmac_f32_e32 v66, v81, v66
	v_fmac_f32_e32 v67, v1, v67
	v_div_scale_f32 v81, s2, v4, v30, v4
	v_fma_f32 v3, -v3, v85, v80
	s_delay_alu instid0(VALU_DEP_4) | instskip(NEXT) | instid1(VALU_DEP_3)
	v_mul_f32_e32 v84, v82, v66
	v_dual_mul_f32 v83, v68, v6 :: v_dual_mul_f32 v86, v81, v67
	v_dual_sub_f32 v39, v34, v39 :: v_dual_sub_f32 v36, v28, v36
	s_delay_alu instid0(VALU_DEP_3) | instskip(NEXT) | instid1(VALU_DEP_3)
	v_fma_f32 v87, -v5, v84, v82
	v_fma_f32 v1, -v2, v83, v68
	s_delay_alu instid0(VALU_DEP_4) | instskip(NEXT) | instid1(VALU_DEP_4)
	v_fma_f32 v97, -v65, v86, v81
	v_cmp_eq_f32_e64 s17, 1.0, v39
	v_cmp_eq_f32_e64 s29, 1.0, v36
	v_fmac_f32_e32 v84, v87, v66
	v_fmac_f32_e32 v83, v1, v6
	v_dual_sub_f32 v1, v54, v64 :: v_dual_fmac_f32 v86, v97, v67
	s_delay_alu instid0(VALU_DEP_3) | instskip(NEXT) | instid1(VALU_DEP_3)
	v_fma_f32 v5, -v5, v84, v82
	v_fma_f32 v2, -v2, v83, v68
	s_delay_alu instid0(VALU_DEP_3) | instskip(NEXT) | instid1(VALU_DEP_4)
	v_cmp_eq_f32_e64 s9, 1.0, v1
	v_fma_f32 v64, -v65, v86, v81
	s_wait_alu 0xfffd
	v_div_fmas_f32 v5, v5, v66, v84
	s_mov_b32 vcc_lo, s0
	v_cmp_lt_i32_e64 s0, -1, v13
	s_wait_alu 0xfffe
	v_div_fmas_f32 v65, v2, v6, v83
	s_mov_b32 vcc_lo, s1
	v_div_fixup_f32 v68, v5, v32, v0
	s_wait_alu 0xfffe
	v_div_fmas_f32 v66, v3, v7, v85
	s_mov_b32 vcc_lo, s2
	v_mul_f32_e32 v7, 0x4f800000, v69
	s_wait_alu 0xfffe
	v_div_fmas_f32 v0, v64, v67, v86
	v_sub_f32_e32 v2, v53, v55
	v_dual_mul_f32 v5, v1, v68 :: v_dual_sub_f32 v6, v71, v54
	v_add_nc_u32_e32 v3, v8, v35
	s_delay_alu instid0(VALU_DEP_4) | instskip(SKIP_1) | instid1(VALU_DEP_4)
	v_div_fixup_f32 v55, v0, v30, v4
	v_cmp_gt_f32_e32 vcc_lo, 0xf800000, v69
	v_mul_f32_e32 v64, v1, v5
	v_dual_sub_f32 v5, v70, v53 :: v_dual_add_nc_u32 v4, v13, v38
	s_delay_alu instid0(VALU_DEP_4) | instskip(SKIP_2) | instid1(VALU_DEP_4)
	v_mul_f32_e32 v67, v2, v55
	v_dual_sub_f32 v53, v71, v53 :: v_dual_sub_f32 v54, v70, v54
	v_mov_b32_e32 v0, 0
	v_cmp_lt_i32_e64 s4, 0, v4
	s_delay_alu instid0(VALU_DEP_4)
	v_fma_f32 v64, v2, v67, -v64
	s_wait_alu 0xfffd
	v_cndmask_b32_e32 v67, v69, v7, vcc_lo
	v_sub_f32_e32 v7, v33, v48
	v_cmp_lt_i32_e64 s1, -1, v8
	v_cmp_lt_i32_e64 s2, 1, v8
	v_mul_f32_e32 v48, 0x3fb8aa3b, v64
	v_sqrt_f32_e32 v69, v67
	v_cmp_lt_i32_e64 s5, 1, v3
	v_cmp_lt_i32_e64 s6, 1, v4
	v_cmp_eq_f32_e64 s7, 1.0, v2
	v_fma_f32 v71, 0x3fb8aa3b, v64, -v48
	v_rndne_f32_e32 v80, v48
	v_mul_f32_e32 v81, v39, v55
	s_delay_alu instid0(TRANS32_DEP_1) | instid1(VALU_DEP_3)
	v_dual_fmac_f32 v71, 0x32a5705f, v64 :: v_dual_add_nc_u32 v82, -1, v69
	v_mul_f32_e32 v70, v7, v68
	s_delay_alu instid0(VALU_DEP_4) | instskip(SKIP_2) | instid1(VALU_DEP_4)
	v_sub_f32_e32 v48, v48, v80
	v_cvt_i32_f32_e32 v80, v80
	v_cmp_eq_f32_e64 s19, 1.0, v7
	v_mul_f32_e32 v70, v7, v70
	s_delay_alu instid0(VALU_DEP_4) | instskip(SKIP_1) | instid1(VALU_DEP_3)
	v_add_f32_e32 v48, v48, v71
	v_fma_f32 v71, -v82, v69, v67
	v_fma_f32 v70, v39, v81, -v70
	v_add_nc_u32_e32 v81, 1, v69
	s_delay_alu instid0(VALU_DEP_3) | instskip(SKIP_1) | instid1(VALU_DEP_3)
	v_cmp_ge_f32_e64 s3, 0, v71
	v_exp_f32_e32 v48, v48
	v_mul_f32_e32 v83, 0x3fb8aa3b, v70
	s_delay_alu instid0(VALU_DEP_3) | instskip(SKIP_2) | instid1(VALU_DEP_3)
	v_fma_f32 v84, -v81, v69, v67
	s_wait_alu 0xf1ff
	v_cndmask_b32_e64 v69, v69, v82, s3
	v_fma_f32 v71, 0x3fb8aa3b, v70, -v83
	s_delay_alu instid0(VALU_DEP_3) | instskip(SKIP_2) | instid1(VALU_DEP_2)
	v_cmp_lt_f32_e64 s3, 0, v84
	v_rndne_f32_e32 v82, v83
	s_wait_alu 0xf1ff
	v_cndmask_b32_e64 v69, v69, v81, s3
	s_delay_alu instid0(VALU_DEP_2)
	v_sub_f32_e32 v81, v83, v82
	v_lshlrev_b32_e32 v83, 2, v38
	v_ldexp_f32 v38, v48, v80
	v_cmp_ngt_f32_e64 s3, 0xc2ce8ed0, v64
	v_mul_f32_e32 v48, 0x37800000, v69
	v_fmac_f32_e32 v71, 0x32a5705f, v70
	s_wait_alu 0xf1ff
	s_delay_alu instid0(VALU_DEP_3) | instskip(NEXT) | instid1(VALU_DEP_3)
	v_cndmask_b32_e64 v38, 0, v38, s3
	v_cndmask_b32_e32 v48, v69, v48, vcc_lo
	v_cmp_nlt_f32_e32 vcc_lo, 0x42b17218, v64
	v_dual_mul_f32 v64, v36, v68 :: v_dual_add_f32 v71, v81, v71
	v_sub_f32_e32 v37, v29, v37
	v_cvt_i32_f32_e32 v68, v82
	s_wait_alu 0xfffd
	v_cndmask_b32_e32 v38, 0x7f800000, v38, vcc_lo
	v_cmp_class_f32_e64 vcc_lo, v67, 0x260
	v_exp_f32_e32 v69, v71
	v_cmp_lt_i32_e64 s3, 0, v3
	v_cmp_eq_f32_e64 s27, 1.0, v37
	s_wait_alu 0xfffd
	v_cndmask_b32_e32 v71, v48, v67, vcc_lo
	v_dual_mul_f32 v67, 0x40490fdb, v38 :: v_dual_mul_f32 v48, v37, v55
	v_mul_f32_e32 v38, v36, v64
	v_cmp_ngt_f32_e32 vcc_lo, 0xc2ce8ed0, v70
	s_and_b32 s56, s3, s4
	s_delay_alu instid0(TRANS32_DEP_1)
	v_ldexp_f32 v55, v69, v68
	v_mul_lo_u32 v68, v35, 28
	v_fma_f32 v69, v37, v48, -v38
	v_mul_f32_e32 v35, v32, v53
	s_add_co_i32 s11, s32, 64
	s_wait_alu 0xfffd
	v_cndmask_b32_e32 v38, 0, v55, vcc_lo
	v_cmp_nlt_f32_e32 vcc_lo, 0x42b17218, v70
	v_mul_f32_e32 v48, 0x3fb8aa3b, v69
	v_div_scale_f32 v64, null, v71, v71, v67
	s_delay_alu instid0(VALU_DEP_2) | instskip(NEXT) | instid1(VALU_DEP_2)
	v_rndne_f32_e32 v80, v48
	v_rcp_f32_e32 v55, v64
	s_wait_alu 0xfffd
	v_cndmask_b32_e32 v53, 0x7f800000, v38, vcc_lo
	v_fma_f32 v70, 0x3fb8aa3b, v69, -v48
	v_div_scale_f32 v82, vcc_lo, v67, v71, v67
	v_sub_f32_e32 v48, v48, v80
	s_delay_alu instid0(VALU_DEP_4) | instskip(NEXT) | instid1(VALU_DEP_4)
	v_dual_mul_f32 v38, v32, v6 :: v_dual_mul_f32 v81, 0x40490fdb, v53
	v_fmac_f32_e32 v70, 0x32a5705f, v69
	s_delay_alu instid0(TRANS32_DEP_1) | instskip(NEXT) | instid1(VALU_DEP_3)
	v_fma_f32 v53, -v64, v55, 1.0
	v_fmac_f32_e32 v38, v30, v54
	s_delay_alu instid0(VALU_DEP_4) | instskip(NEXT) | instid1(VALU_DEP_3)
	v_div_scale_f32 v84, null, v71, v71, v81
	v_dual_add_f32 v48, v48, v70 :: v_dual_fmac_f32 v55, v53, v55
	s_delay_alu instid0(VALU_DEP_2) | instskip(NEXT) | instid1(VALU_DEP_1)
	v_rcp_f32_e32 v85, v84
	v_exp_f32_e32 v54, v48
	s_delay_alu instid0(VALU_DEP_1) | instskip(SKIP_2) | instid1(VALU_DEP_3)
	v_mul_f32_e32 v53, v82, v55
	v_div_fixup_f32 v48, v65, v30, 0.5
	v_cvt_i32_f32_e32 v65, v80
	v_fma_f32 v70, -v64, v53, v82
	s_delay_alu instid0(TRANS32_DEP_2)
	v_fma_f32 v86, -v84, v85, 1.0
	s_delay_alu instid0(TRANS32_DEP_1) | instid1(VALU_DEP_3)
	v_ldexp_f32 v54, v54, v65
	s_delay_alu instid0(VALU_DEP_3) | instskip(SKIP_1) | instid1(VALU_DEP_4)
	v_fmac_f32_e32 v53, v70, v55
	v_div_scale_f32 v70, s10, v81, v71, v81
	v_fmac_f32_e32 v85, v86, v85
	s_delay_alu instid0(VALU_DEP_3) | instskip(SKIP_1) | instid1(VALU_DEP_1)
	v_fma_f32 v64, -v64, v53, v82
	s_wait_alu 0xfffd
	v_div_fmas_f32 v55, v64, v55, v53
	v_cmp_ngt_f32_e32 vcc_lo, 0xc2ce8ed0, v69
	v_fmac_f32_e32 v35, v30, v5
	v_div_fixup_f32 v53, v66, v32, 0.5
	s_wait_alu 0xfffd
	v_cndmask_b32_e32 v64, 0, v54, vcc_lo
	v_cmp_nlt_f32_e32 vcc_lo, 0x42b17218, v69
	v_div_fixup_f32 v54, v55, v71, v67
	s_wait_alu 0xfffe
	v_add3_u32 v55, s11, v83, v68
	v_sub_f32_e32 v68, v51, v33
	s_wait_alu 0xfffd
	v_cndmask_b32_e32 v64, 0x7f800000, v64, vcc_lo
	s_mov_b32 vcc_lo, s10
	s_delay_alu instid0(VALU_DEP_1) | instskip(SKIP_2) | instid1(VALU_DEP_3)
	v_dual_mul_f32 v69, 0x40490fdb, v64 :: v_dual_sub_f32 v64, v52, v34
	v_dual_sub_f32 v52, v52, v33 :: v_dual_add_nc_u32 v33, v9, v27
	v_mul_f32_e32 v66, v70, v85
	v_div_scale_f32 v80, null, v71, v71, v69
	v_mul_lo_u32 v27, v27, 28
	s_delay_alu instid0(VALU_DEP_4) | instskip(NEXT) | instid1(VALU_DEP_4)
	v_cmp_lt_i32_e64 s10, 0, v33
	v_fma_f32 v65, -v84, v66, v70
	v_mul_f32_e32 v64, v32, v64
	v_cmp_lt_i32_e64 s12, 1, v33
	s_delay_alu instid0(VALU_DEP_3) | instskip(SKIP_2) | instid1(VALU_DEP_3)
	v_dual_fmac_f32 v66, v65, v85 :: v_dual_mul_f32 v65, v32, v52
	v_dual_sub_f32 v34, v51, v34 :: v_dual_add_nc_u32 v51, v16, v31
	v_lshlrev_b32_e32 v31, 2, v31
	v_fma_f32 v67, -v84, v66, v70
	v_rcp_f32_e32 v70, v80
	s_delay_alu instid0(VALU_DEP_3)
	v_cmp_lt_i32_e64 s11, 0, v51
	v_cmp_lt_i32_e64 s13, 1, v51
	s_wait_alu 0xfffe
	v_div_fmas_f32 v66, v67, v85, v66
	s_and_b32 s57, s10, s11
	s_add_co_i32 s20, s32, 64
	s_delay_alu instid0(VALU_DEP_1) | instskip(NEXT) | instid1(TRANS32_DEP_1)
	v_div_fixup_f32 v66, v66, v71, v81
	v_fma_f32 v67, -v80, v70, 1.0
	v_div_scale_f32 v81, vcc_lo, v69, v71, v69
	s_wait_alu 0xfffe
	v_add3_u32 v27, s20, v31, v27
	s_delay_alu instid0(VALU_DEP_3) | instskip(SKIP_1) | instid1(VALU_DEP_2)
	v_dual_fmac_f32 v70, v67, v70 :: v_dual_add_nc_u32 v31, v12, v25
	v_mul_lo_u32 v25, v25, 28
	v_cmp_lt_i32_e64 s20, 0, v31
	s_delay_alu instid0(VALU_DEP_3) | instskip(SKIP_1) | instid1(VALU_DEP_2)
	v_mul_f32_e32 v82, v81, v70
	v_cmp_lt_i32_e64 s22, 1, v31
	v_fma_f32 v67, -v80, v82, v81
	s_delay_alu instid0(VALU_DEP_1)
	v_fmac_f32_e32 v82, v67, v70
	v_add_nc_u32_e32 v67, v17, v26
	v_fmac_f32_e32 v65, v30, v68
	v_fmac_f32_e32 v64, v30, v34
	v_sub_f32_e32 v68, v50, v29
	v_sub_f32_e32 v50, v50, v28
	v_fma_f32 v80, -v80, v82, v81
	v_cmp_lt_i32_e64 s21, 0, v67
	s_delay_alu instid0(VALU_DEP_4) | instskip(NEXT) | instid1(VALU_DEP_4)
	v_dual_sub_f32 v29, v49, v29 :: v_dual_mul_f32 v68, v32, v68
	v_mul_f32_e32 v32, v32, v50
	v_sub_f32_e32 v28, v49, v28
	s_wait_alu 0xfffd
	v_div_fmas_f32 v49, v80, v70, v82
	v_lshlrev_b32_e32 v26, 2, v26
	s_and_b32 s58, s20, s21
	s_add_co_i32 s40, s32, 64
	v_fmac_f32_e32 v68, v30, v29
	v_fmac_f32_e32 v32, v30, v28
	v_div_fixup_f32 v28, v49, v71, v69
	v_cmp_lt_i32_e64 s23, 1, v67
	s_wait_alu 0xfffe
	v_add3_u32 v25, s40, v26, v25
	s_add_co_i32 s59, s32, 0x78
	v_add_nc_u32_e32 v26, -1, v8
	v_add_nc_u32_e32 v30, -1, v13
	;; [unrolled: 1-line block ×6, first 2 shown]
	s_add_co_i32 s40, s32, 64
	s_wait_alu 0xfffe
	s_or_b32 s60, s40, 8
	s_branch .LBB0_225
.LBB0_223:                              ;   in Loop: Header=BB0_225 Depth=1
	s_or_b32 exec_lo, exec_lo, s73
.LBB0_224:                              ;   in Loop: Header=BB0_225 Depth=1
	s_wait_alu 0xfffe
	s_or_b32 exec_lo, exec_lo, s72
	s_add_co_i32 s40, s32, s63
	v_mul_f32_e32 v80, v80, v85
	s_wait_alu 0xfffe
	s_add_co_i32 s40, s40, 32
	v_cmp_eq_u32_e32 vcc_lo, s62, v24
	scratch_load_b32 v82, off, s40
	s_add_co_i32 s62, s62, 1
	v_mul_f32_e32 v80, v80, v81
	s_or_b32 s46, vcc_lo, s46
	s_wait_loadcnt 0x0
	s_delay_alu instid0(VALU_DEP_1)
	v_fmac_f32_e32 v0, v80, v82
	s_wait_alu 0xfffe
	s_and_not1_b32 exec_lo, exec_lo, s46
	s_cbranch_execz .LBB0_362
.LBB0_225:                              ; =>This Loop Header: Depth=1
                                        ;     Child Loop BB0_231 Depth 2
                                        ;     Child Loop BB0_234 Depth 2
                                        ;     Child Loop BB0_238 Depth 2
                                        ;       Child Loop BB0_240 Depth 3
                                        ;     Child Loop BB0_244 Depth 2
                                        ;       Child Loop BB0_247 Depth 3
                                        ;         Child Loop BB0_249 Depth 4
                                        ;         Child Loop BB0_253 Depth 4
                                        ;         Child Loop BB0_256 Depth 4
                                        ;       Child Loop BB0_260 Depth 3
                                        ;       Child Loop BB0_265 Depth 3
                                        ;       Child Loop BB0_268 Depth 3
                                        ;     Child Loop BB0_277 Depth 2
                                        ;     Child Loop BB0_280 Depth 2
                                        ;     Child Loop BB0_284 Depth 2
                                        ;       Child Loop BB0_286 Depth 3
                                        ;     Child Loop BB0_290 Depth 2
                                        ;       Child Loop BB0_293 Depth 3
                                        ;         Child Loop BB0_295 Depth 4
                                        ;         Child Loop BB0_299 Depth 4
                                        ;         Child Loop BB0_302 Depth 4
                                        ;       Child Loop BB0_306 Depth 3
                                        ;       Child Loop BB0_311 Depth 3
                                        ;       Child Loop BB0_314 Depth 3
	;; [unrolled: 12-line block ×3, first 2 shown]
	s_wait_alu 0xfffe
	s_lshl_b32 s63, s62, 2
	scratch_store_b32 off, v54, s32 offset:64
	s_wait_alu 0xfffe
	s_add_co_i32 s40, s32, s63
	scratch_load_b32 v80, off, s40
	s_wait_loadcnt 0x0
	v_add_f32_e32 v81, 1.0, v80
	v_mul_f32_e32 v80, 0.5, v80
	s_delay_alu instid0(VALU_DEP_2) | instskip(NEXT) | instid1(VALU_DEP_2)
	v_div_scale_f32 v82, null, v81, v81, 1.0
	v_div_scale_f32 v83, null, v20, v20, v80
	v_div_scale_f32 v96, vcc_lo, 1.0, v81, 1.0
	s_delay_alu instid0(VALU_DEP_3) | instskip(NEXT) | instid1(VALU_DEP_2)
	v_rcp_f32_e32 v84, v82
	v_rcp_f32_e32 v85, v83
	s_delay_alu instid0(TRANS32_DEP_2) | instskip(NEXT) | instid1(TRANS32_DEP_1)
	v_fma_f32 v86, -v82, v84, 1.0
	v_fma_f32 v87, -v83, v85, 1.0
	s_delay_alu instid0(VALU_DEP_1) | instskip(SKIP_1) | instid1(VALU_DEP_1)
	v_dual_fmac_f32 v85, v87, v85 :: v_dual_fmac_f32 v84, v86, v84
	v_div_scale_f32 v86, s40, v80, v20, v80
	v_mul_f32_e32 v97, v86, v85
	s_delay_alu instid0(VALU_DEP_1) | instskip(NEXT) | instid1(VALU_DEP_1)
	v_fma_f32 v99, -v83, v97, v86
	v_fmac_f32_e32 v97, v99, v85
	v_mul_f32_e32 v87, v96, v84
	s_delay_alu instid0(VALU_DEP_2) | instskip(NEXT) | instid1(VALU_DEP_2)
	v_fma_f32 v83, -v83, v97, v86
	v_fma_f32 v98, -v82, v87, v96
	s_delay_alu instid0(VALU_DEP_1) | instskip(NEXT) | instid1(VALU_DEP_1)
	v_fmac_f32_e32 v87, v98, v84
	v_fma_f32 v82, -v82, v87, v96
	s_wait_alu 0xfffd
	s_delay_alu instid0(VALU_DEP_1)
	v_div_fmas_f32 v82, v82, v84, v87
	s_wait_alu 0xfffe
	s_mov_b32 vcc_lo, s40
	s_wait_alu 0xfffe
	v_div_fmas_f32 v83, v83, v85, v97
	v_div_fixup_f32 v84, v82, v81, 1.0
	s_delay_alu instid0(VALU_DEP_2) | instskip(NEXT) | instid1(VALU_DEP_1)
	v_div_fixup_f32 v80, v83, v20, v80
	v_mul_f32_e32 v81, v80, v84
	s_delay_alu instid0(VALU_DEP_1) | instskip(NEXT) | instid1(VALU_DEP_1)
	v_dual_mul_f32 v80, v5, v84 :: v_dual_mul_f32 v85, v35, v81
	v_cvt_f64_f32_e32 v[82:83], v80
	s_delay_alu instid0(VALU_DEP_2) | instskip(NEXT) | instid1(VALU_DEP_1)
	v_cvt_f64_f32_e32 v[85:86], v85
	v_fma_f64 v[82:83], v[85:86], 2.0, v[82:83]
	s_delay_alu instid0(VALU_DEP_1)
	v_cvt_f32_f64_e32 v82, v[82:83]
	s_and_saveexec_b32 s40, s3
	s_cbranch_execz .LBB0_227
; %bb.226:                              ;   in Loop: Header=BB0_225 Depth=1
	s_delay_alu instid0(VALU_DEP_1)
	v_mul_f32_e32 v80, v54, v82
	scratch_store_b32 off, v80, s32 offset:92
.LBB0_227:                              ;   in Loop: Header=BB0_225 Depth=1
	s_wait_alu 0xfffe
	s_or_b32 exec_lo, exec_lo, s40
	v_mul_f32_e32 v80, v6, v84
	v_mul_f32_e32 v83, v38, v81
	s_delay_alu instid0(VALU_DEP_2) | instskip(NEXT) | instid1(VALU_DEP_2)
	v_cvt_f64_f32_e32 v[85:86], v80
	v_cvt_f64_f32_e32 v[96:97], v83
	s_delay_alu instid0(VALU_DEP_1) | instskip(NEXT) | instid1(VALU_DEP_1)
	v_fma_f64 v[85:86], v[96:97], 2.0, v[85:86]
	v_cvt_f32_f64_e32 v80, v[85:86]
	s_and_saveexec_b32 s40, s4
	s_cbranch_execz .LBB0_229
; %bb.228:                              ;   in Loop: Header=BB0_225 Depth=1
	s_delay_alu instid0(VALU_DEP_1)
	v_mul_f32_e32 v83, v54, v80
	scratch_store_b32 off, v83, s32 offset:68
.LBB0_229:                              ;   in Loop: Header=BB0_225 Depth=1
	s_wait_alu 0xfffe
	s_or_b32 exec_lo, exec_lo, s40
	v_fma_f32 v83, v48, v84, v81
	s_and_saveexec_b32 s40, s5
	s_cbranch_execz .LBB0_232
; %bb.230:                              ;   in Loop: Header=BB0_225 Depth=1
	scratch_load_b32 v85, off, s32 offset:92
	s_mov_b32 s41, 1
	s_mov_b32 s42, 0
	;; [unrolled: 1-line block ×3, first 2 shown]
.LBB0_231:                              ;   Parent Loop BB0_225 Depth=1
                                        ; =>  This Inner Loop Header: Depth=2
	scratch_load_b32 v86, off, s43 offset:-56
	s_wait_alu 0xfffe
	s_cvt_f32_i32 s44, s41
	s_add_co_i32 s41, s41, 1
	s_wait_alu 0xfffe
	v_cmp_eq_u32_e32 vcc_lo, s41, v3
	v_mul_f32_e32 v87, s44, v83
	s_wait_loadcnt 0x0
	s_delay_alu instid0(VALU_DEP_1) | instskip(NEXT) | instid1(VALU_DEP_1)
	v_mul_f32_e32 v86, v86, v87
	v_fmac_f32_e32 v86, v85, v82
	s_delay_alu instid0(VALU_DEP_1)
	v_mov_b32_e32 v85, v86
	scratch_store_b32 off, v86, s43
	s_add_co_i32 s43, s43, 28
	s_or_b32 s42, vcc_lo, s42
	s_wait_alu 0xfffe
	s_and_not1_b32 exec_lo, exec_lo, s42
	s_cbranch_execnz .LBB0_231
.LBB0_232:                              ;   in Loop: Header=BB0_225 Depth=1
	s_wait_alu 0xfffe
	s_or_b32 exec_lo, exec_lo, s40
	v_fma_f32 v82, v53, v84, v81
	s_and_saveexec_b32 s40, s6
	s_cbranch_execz .LBB0_235
; %bb.233:                              ;   in Loop: Header=BB0_225 Depth=1
	scratch_load_b32 v85, off, s32 offset:68
	s_mov_b32 s41, 1
	s_mov_b32 s42, 0
	;; [unrolled: 1-line block ×3, first 2 shown]
.LBB0_234:                              ;   Parent Loop BB0_225 Depth=1
                                        ; =>  This Inner Loop Header: Depth=2
	scratch_load_b32 v86, off, s43 offset:-8
	s_wait_alu 0xfffe
	s_cvt_f32_i32 s44, s41
	s_add_co_i32 s41, s41, 1
	s_wait_alu 0xfffe
	v_cmp_eq_u32_e32 vcc_lo, s41, v4
	v_mul_f32_e32 v87, s44, v82
	s_wait_loadcnt 0x0
	s_delay_alu instid0(VALU_DEP_1) | instskip(NEXT) | instid1(VALU_DEP_1)
	v_mul_f32_e32 v86, v86, v87
	v_fmac_f32_e32 v86, v85, v80
	s_delay_alu instid0(VALU_DEP_1)
	v_mov_b32_e32 v85, v86
	scratch_store_b32 off, v86, s43
	s_add_co_i32 s43, s43, 4
	s_or_b32 s42, vcc_lo, s42
	s_wait_alu 0xfffe
	s_and_not1_b32 exec_lo, exec_lo, s42
	s_cbranch_execnz .LBB0_234
.LBB0_235:                              ;   in Loop: Header=BB0_225 Depth=1
	s_wait_alu 0xfffe
	s_or_b32 exec_lo, exec_lo, s40
	s_and_saveexec_b32 s40, s56
	s_cbranch_execz .LBB0_241
; %bb.236:                              ;   in Loop: Header=BB0_225 Depth=1
	s_mov_b32 s43, 1
	s_mov_b32 s41, 0
	;; [unrolled: 1-line block ×3, first 2 shown]
	s_branch .LBB0_238
.LBB0_237:                              ;   in Loop: Header=BB0_238 Depth=2
	s_wait_alu 0xfffe
	s_or_b32 exec_lo, exec_lo, s44
	v_cmp_eq_u32_e32 vcc_lo, s43, v3
	s_add_co_i32 s43, s43, 1
	s_add_co_i32 s42, s42, 28
	s_or_b32 s41, vcc_lo, s41
	s_wait_alu 0xfffe
	s_and_not1_b32 exec_lo, exec_lo, s41
	s_cbranch_execz .LBB0_241
.LBB0_238:                              ;   Parent Loop BB0_225 Depth=1
                                        ; =>  This Loop Header: Depth=2
                                        ;       Child Loop BB0_240 Depth 3
	s_wait_alu 0xfffe
	s_mul_i32 s44, s43, 28
	s_wait_alu 0xfffe
	s_add_co_i32 s72, s32, s44
	s_wait_alu 0xfffe
	s_add_co_i32 s44, s72, 64
	s_cvt_f32_u32 s72, s43
	s_clause 0x1
	scratch_load_b32 v86, off, s44
	scratch_load_b32 v87, off, s44 offset:-28
	s_wait_loadcnt 0x1
	s_wait_alu 0xfffe
	v_dual_mul_f32 v85, s72, v81 :: v_dual_mul_f32 v86, v86, v80
	s_wait_loadcnt 0x0
	s_delay_alu instid0(VALU_DEP_1)
	v_fmac_f32_e32 v86, v87, v85
	scratch_store_b32 off, v86, s44 offset:4
	s_and_saveexec_b32 s44, s6
	s_cbranch_execz .LBB0_237
; %bb.239:                              ;   in Loop: Header=BB0_238 Depth=2
	s_mov_b32 s72, 1
	s_mov_b32 s73, 0
	;; [unrolled: 1-line block ×3, first 2 shown]
.LBB0_240:                              ;   Parent Loop BB0_225 Depth=1
                                        ;     Parent Loop BB0_238 Depth=2
                                        ; =>    This Inner Loop Header: Depth=3
	s_clause 0x1
	scratch_load_b32 v87, off, s74
	scratch_load_b32 v96, off, s74 offset:-24
	s_wait_alu 0xfffe
	s_cvt_f32_i32 s75, s72
	s_add_co_i32 s72, s72, 1
	s_wait_alu 0xfffe
	v_cmp_eq_u32_e32 vcc_lo, s72, v4
	v_mul_f32_e32 v97, s75, v82
	s_wait_loadcnt 0x1
	s_delay_alu instid0(VALU_DEP_1) | instskip(SKIP_1) | instid1(VALU_DEP_1)
	v_mul_f32_e32 v87, v87, v97
	s_wait_loadcnt 0x0
	v_fmac_f32_e32 v87, v85, v96
	s_delay_alu instid0(VALU_DEP_1) | instskip(NEXT) | instid1(VALU_DEP_1)
	v_fmac_f32_e32 v87, v86, v80
	v_mov_b32_e32 v86, v87
	scratch_store_b32 off, v87, s74 offset:8
	s_add_co_i32 s74, s74, 4
	s_or_b32 s73, vcc_lo, s73
	s_wait_alu 0xfffe
	s_and_not1_b32 exec_lo, exec_lo, s73
	s_cbranch_execnz .LBB0_240
	s_branch .LBB0_237
.LBB0_241:                              ;   in Loop: Header=BB0_225 Depth=1
	s_wait_alu 0xfffe
	s_or_b32 exec_lo, exec_lo, s40
	v_mov_b32_e32 v80, 0
	s_and_saveexec_b32 s72, s0
	s_cbranch_execz .LBB0_271
; %bb.242:                              ;   in Loop: Header=BB0_225 Depth=1
	v_dual_mov_b32 v80, 0 :: v_dual_mov_b32 v85, v30
	s_mov_b32 s73, 0
	s_mov_b32 s74, 0
	s_branch .LBB0_244
.LBB0_243:                              ;   in Loop: Header=BB0_244 Depth=2
	s_wait_alu 0xfffe
	s_or_b32 exec_lo, exec_lo, s41
	v_cvt_f32_i32_e32 v97, v97
	v_mul_lo_u32 v96, v96, s40
	v_sub_nc_u32_e32 v119, 0, v87
	v_add_nc_u32_e32 v85, -1, v85
	s_delay_alu instid0(VALU_DEP_4) | instskip(NEXT) | instid1(VALU_DEP_3)
	v_cndmask_b32_e64 v99, v97, 1.0, s9
	v_max_i32_e32 v119, v87, v119
	v_xor_b32_e32 v87, v87, v96
	s_delay_alu instid0(VALU_DEP_3) | instskip(NEXT) | instid1(VALU_DEP_2)
	v_cmp_neq_f32_e32 vcc_lo, 0, v99
	v_ashrrev_i32_e32 v87, 31, v87
	s_wait_alu 0xfffd
	v_cndmask_b32_e32 v100, 1.0, v1, vcc_lo
	s_delay_alu instid0(VALU_DEP_1) | instskip(NEXT) | instid1(VALU_DEP_1)
	v_frexp_mant_f32_e64 v97, |v100|
	v_cmp_gt_f32_e32 vcc_lo, 0x3f2aaaab, v97
	s_wait_alu 0xfffd
	v_cndmask_b32_e64 v98, 1.0, 2.0, vcc_lo
	s_delay_alu instid0(VALU_DEP_1) | instskip(NEXT) | instid1(VALU_DEP_1)
	v_mul_f32_e32 v97, v97, v98
	v_add_f32_e32 v98, 1.0, v97
	v_add_f32_e32 v102, -1.0, v97
	s_delay_alu instid0(VALU_DEP_2) | instskip(NEXT) | instid1(VALU_DEP_1)
	v_add_f32_e32 v112, -1.0, v98
	v_sub_f32_e32 v97, v97, v112
	v_rcp_f32_e32 v101, v98
	s_delay_alu instid0(TRANS32_DEP_1) | instskip(NEXT) | instid1(VALU_DEP_1)
	v_mul_f32_e32 v103, v102, v101
	v_mul_f32_e32 v113, v98, v103
	s_delay_alu instid0(VALU_DEP_1) | instskip(NEXT) | instid1(VALU_DEP_1)
	v_fma_f32 v98, v103, v98, -v113
	v_fmac_f32_e32 v98, v103, v97
	s_delay_alu instid0(VALU_DEP_1) | instskip(NEXT) | instid1(VALU_DEP_1)
	v_add_f32_e32 v97, v113, v98
	v_sub_f32_e32 v112, v102, v97
	s_delay_alu instid0(VALU_DEP_1) | instskip(NEXT) | instid1(VALU_DEP_1)
	v_dual_sub_f32 v102, v102, v112 :: v_dual_sub_f32 v113, v97, v113
	v_dual_sub_f32 v97, v102, v97 :: v_dual_sub_f32 v98, v113, v98
	s_delay_alu instid0(VALU_DEP_1) | instskip(NEXT) | instid1(VALU_DEP_1)
	v_add_f32_e32 v97, v98, v97
	v_add_f32_e32 v97, v112, v97
	s_delay_alu instid0(VALU_DEP_1) | instskip(NEXT) | instid1(VALU_DEP_1)
	v_mul_f32_e32 v97, v101, v97
	v_add_f32_e32 v101, v103, v97
	s_delay_alu instid0(VALU_DEP_1) | instskip(NEXT) | instid1(VALU_DEP_1)
	v_sub_f32_e32 v98, v101, v103
	v_sub_f32_e32 v103, v97, v98
	s_delay_alu instid0(VALU_DEP_1) | instskip(NEXT) | instid1(VALU_DEP_1)
	v_dual_mul_f32 v102, v101, v101 :: v_dual_add_f32 v97, v103, v103
	v_fma_f32 v112, v101, v101, -v102
	s_delay_alu instid0(VALU_DEP_1) | instskip(SKIP_1) | instid1(VALU_DEP_2)
	v_fmac_f32_e32 v112, v101, v97
	v_cvt_f64_f32_e64 v[97:98], |v100|
	v_add_f32_e32 v113, v102, v112
	s_delay_alu instid0(VALU_DEP_1) | instskip(SKIP_1) | instid1(VALU_DEP_2)
	v_fmaak_f32 v114, s61, v113, 0x3e91f4c4
	v_sub_f32_e32 v102, v113, v102
	v_fmaak_f32 v114, v113, v114, 0x3ecccdef
	s_delay_alu instid0(VALU_DEP_2) | instskip(NEXT) | instid1(VALU_DEP_2)
	v_sub_f32_e32 v102, v112, v102
	v_mul_f32_e32 v115, v113, v114
	s_delay_alu instid0(VALU_DEP_1) | instskip(NEXT) | instid1(VALU_DEP_1)
	v_fma_f32 v112, v113, v114, -v115
	v_dual_fmac_f32 v112, v102, v114 :: v_dual_mul_f32 v117, v101, v113
	s_delay_alu instid0(VALU_DEP_1) | instskip(SKIP_1) | instid1(VALU_DEP_2)
	v_add_f32_e32 v114, v115, v112
	v_frexp_exp_i32_f64_e32 v97, v[97:98]
	v_sub_f32_e32 v115, v114, v115
	s_delay_alu instid0(VALU_DEP_1) | instskip(SKIP_1) | instid1(VALU_DEP_1)
	v_sub_f32_e32 v98, v112, v115
	v_fma_f32 v115, v113, v101, -v117
	v_dual_add_f32 v98, 0x31739010, v98 :: v_dual_fmac_f32 v115, v113, v103
	v_add_f32_e32 v116, 0x3f2aaaaa, v114
	v_ldexp_f32 v103, v103, 1
	s_delay_alu instid0(VALU_DEP_2) | instskip(NEXT) | instid1(VALU_DEP_1)
	v_dual_fmac_f32 v115, v102, v101 :: v_dual_add_f32 v112, 0xbf2aaaaa, v116
	v_sub_f32_e32 v112, v114, v112
	s_delay_alu instid0(VALU_DEP_1) | instskip(NEXT) | instid1(VALU_DEP_1)
	v_add_f32_e32 v98, v98, v112
	v_add_f32_e32 v102, v116, v98
	v_subrev_co_ci_u32_e64 v97, null, 0, v97, vcc_lo
	s_delay_alu instid0(VALU_DEP_2) | instskip(NEXT) | instid1(VALU_DEP_2)
	v_sub_f32_e32 v113, v116, v102
	v_cvt_f32_i32_e32 v97, v97
	v_add_f32_e32 v112, v117, v115
	s_delay_alu instid0(VALU_DEP_3) | instskip(NEXT) | instid1(VALU_DEP_2)
	v_add_f32_e32 v98, v98, v113
	v_mul_f32_e32 v114, v112, v102
	v_sub_f32_e32 v116, v112, v117
	s_delay_alu instid0(VALU_DEP_2) | instskip(NEXT) | instid1(VALU_DEP_2)
	v_fma_f32 v113, v112, v102, -v114
	v_sub_f32_e32 v115, v115, v116
	s_delay_alu instid0(VALU_DEP_2) | instskip(SKIP_1) | instid1(VALU_DEP_2)
	v_fmac_f32_e32 v113, v112, v98
	v_ldexp_f32 v98, v101, 1
	v_fmac_f32_e32 v113, v115, v102
	s_delay_alu instid0(VALU_DEP_1) | instskip(NEXT) | instid1(VALU_DEP_1)
	v_add_f32_e32 v101, v114, v113
	v_add_f32_e32 v102, v98, v101
	v_sub_f32_e32 v112, v101, v114
	v_mul_f32_e32 v114, 0x3f317218, v97
	s_delay_alu instid0(VALU_DEP_3) | instskip(NEXT) | instid1(VALU_DEP_3)
	v_sub_f32_e32 v98, v102, v98
	v_sub_f32_e32 v112, v113, v112
	s_delay_alu instid0(VALU_DEP_3) | instskip(NEXT) | instid1(VALU_DEP_2)
	v_fma_f32 v113, 0x3f317218, v97, -v114
	v_dual_sub_f32 v98, v101, v98 :: v_dual_add_f32 v101, v103, v112
	s_delay_alu instid0(VALU_DEP_2) | instskip(NEXT) | instid1(VALU_DEP_2)
	v_fmac_f32_e32 v113, 0xb102e308, v97
	v_add_f32_e32 v97, v101, v98
	s_delay_alu instid0(VALU_DEP_1) | instskip(NEXT) | instid1(VALU_DEP_1)
	v_add_f32_e32 v101, v102, v97
	v_sub_f32_e32 v102, v101, v102
	s_delay_alu instid0(VALU_DEP_1) | instskip(NEXT) | instid1(VALU_DEP_1)
	v_dual_sub_f32 v97, v97, v102 :: v_dual_add_f32 v98, v114, v113
	v_sub_f32_e32 v114, v98, v114
	s_delay_alu instid0(VALU_DEP_1) | instskip(SKIP_1) | instid1(VALU_DEP_2)
	v_sub_f32_e32 v113, v113, v114
	v_add_f32_e32 v103, v98, v101
	v_add_f32_e32 v102, v113, v97
	s_delay_alu instid0(VALU_DEP_2) | instskip(NEXT) | instid1(VALU_DEP_1)
	v_sub_f32_e32 v112, v103, v98
	v_sub_f32_e32 v115, v103, v112
	s_delay_alu instid0(VALU_DEP_1) | instskip(NEXT) | instid1(VALU_DEP_1)
	v_dual_sub_f32 v101, v101, v112 :: v_dual_sub_f32 v98, v98, v115
	v_dual_add_f32 v98, v101, v98 :: v_dual_sub_f32 v101, v102, v113
	s_delay_alu instid0(VALU_DEP_1) | instskip(NEXT) | instid1(VALU_DEP_2)
	v_add_f32_e32 v98, v102, v98
	v_sub_f32_e32 v102, v102, v101
	s_delay_alu instid0(VALU_DEP_2) | instskip(NEXT) | instid1(VALU_DEP_1)
	v_dual_sub_f32 v97, v97, v101 :: v_dual_add_f32 v112, v103, v98
	v_dual_sub_f32 v101, v113, v102 :: v_dual_sub_f32 v102, v112, v103
	s_delay_alu instid0(VALU_DEP_1) | instskip(SKIP_1) | instid1(VALU_DEP_3)
	v_add_f32_e32 v97, v97, v101
	v_sub_nc_u32_e32 v103, 0, v96
	v_sub_f32_e32 v98, v98, v102
	s_delay_alu instid0(VALU_DEP_1) | instskip(NEXT) | instid1(VALU_DEP_1)
	v_add_f32_e32 v97, v97, v98
	v_add_f32_e32 v98, v112, v97
	s_delay_alu instid0(VALU_DEP_1) | instskip(NEXT) | instid1(VALU_DEP_1)
	v_dual_sub_f32 v101, v98, v112 :: v_dual_mul_f32 v102, v99, v98
	v_sub_f32_e32 v97, v97, v101
	s_delay_alu instid0(VALU_DEP_2) | instskip(SKIP_3) | instid1(VALU_DEP_4)
	v_fma_f32 v98, v99, v98, -v102
	v_max_i32_e32 v101, v96, v103
	v_cmp_class_f32_e64 vcc_lo, v102, 0x204
	v_trunc_f32_e32 v96, v99
	v_fmac_f32_e32 v98, v99, v97
	s_delay_alu instid0(VALU_DEP_4) | instskip(SKIP_1) | instid1(VALU_DEP_4)
	v_cvt_f32_u32_e32 v97, v101
	v_sub_nc_u32_e32 v114, 0, v101
	v_cmp_eq_f32_e64 s40, v96, v99
	s_delay_alu instid0(VALU_DEP_4) | instskip(NEXT) | instid1(VALU_DEP_4)
	v_add_f32_e32 v103, v102, v98
	v_rcp_iflag_f32_e32 v97, v97
	s_wait_alu 0xfffd
	s_delay_alu instid0(VALU_DEP_1) | instskip(NEXT) | instid1(VALU_DEP_1)
	v_cndmask_b32_e32 v112, v103, v102, vcc_lo
	v_cmp_eq_f32_e32 vcc_lo, 0x42b17218, v112
	s_delay_alu instid0(TRANS32_DEP_1) | instskip(SKIP_3) | instid1(VALU_DEP_3)
	v_mul_f32_e32 v97, 0x4f7ffffe, v97
	v_cmp_neq_f32_e64 s41, 0x7f800000, |v112|
	s_wait_alu 0xfffd
	v_cndmask_b32_e64 v113, 0, 0x37000000, vcc_lo
	v_cvt_u32_f32_e32 v97, v97
	v_cmp_gt_f32_e32 vcc_lo, 0, v99
	s_delay_alu instid0(VALU_DEP_3) | instskip(NEXT) | instid1(VALU_DEP_3)
	v_sub_f32_e32 v115, v112, v113
	v_mul_lo_u32 v114, v114, v97
	s_delay_alu instid0(VALU_DEP_2) | instskip(SKIP_1) | instid1(VALU_DEP_3)
	v_mul_f32_e32 v116, 0x3fb8aa3b, v115
	v_sub_f32_e32 v102, v103, v102
	v_mul_hi_u32 v114, v97, v114
	s_delay_alu instid0(VALU_DEP_3) | instskip(SKIP_1) | instid1(VALU_DEP_2)
	v_fma_f32 v117, 0x3fb8aa3b, v115, -v116
	v_rndne_f32_e32 v118, v116
	v_dual_sub_f32 v96, v98, v102 :: v_dual_fmac_f32 v117, 0x32a5705f, v115
	s_delay_alu instid0(VALU_DEP_2)
	v_sub_f32_e32 v116, v116, v118
	v_add_nc_u32_e32 v97, v97, v114
	v_cvt_i32_f32_e32 v103, v118
	s_wait_alu 0xf1ff
	v_cndmask_b32_e64 v96, 0, v96, s41
	v_cmp_ngt_f32_e64 s41, 0xc2ce8ed0, v115
	v_add_f32_e32 v116, v116, v117
	v_mul_hi_u32 v97, v119, v97
	s_delay_alu instid0(VALU_DEP_4) | instskip(NEXT) | instid1(VALU_DEP_3)
	v_add_f32_e32 v96, v113, v96
	v_exp_f32_e32 v114, v116
	v_mul_f32_e32 v116, 0.5, v99
	s_delay_alu instid0(VALU_DEP_3) | instskip(NEXT) | instid1(VALU_DEP_2)
	v_mul_lo_u32 v98, v97, v101
	v_trunc_f32_e32 v102, v116
	s_delay_alu instid0(TRANS32_DEP_1) | instskip(NEXT) | instid1(VALU_DEP_2)
	v_ldexp_f32 v99, v114, v103
	v_cmp_neq_f32_e64 s42, v102, v116
	s_delay_alu instid0(VALU_DEP_4)
	v_sub_nc_u32_e32 v98, v119, v98
	v_add_nc_u32_e32 v103, 1, v97
	s_wait_alu 0xf1ff
	v_cndmask_b32_e64 v99, 0, v99, s41
	v_cmp_nlt_f32_e64 s41, 0x42b17218, v115
	v_cmp_ge_u32_e64 s43, v98, v101
	v_sub_nc_u32_e32 v102, v98, v101
	s_and_b32 s42, s40, s42
	v_cndmask_b32_e64 v99, 0x7f800000, v99, s41
	v_cmp_eq_f32_e64 s41, 0, v100
	v_cndmask_b32_e64 v97, v97, v103, s43
	s_wait_alu 0xfffe
	v_cndmask_b32_e64 v103, 1.0, v100, s42
	v_cndmask_b32_e64 v98, v98, v102, s43
	v_fma_f32 v96, v99, v96, v99
	v_cmp_class_f32_e64 s44, v99, 0x204
	s_xor_b32 s43, vcc_lo, s41
	v_cmp_ge_u32_e32 vcc_lo, v98, v101
	s_wait_alu 0xfffe
	v_cndmask_b32_e64 v102, 0x7f800000, 0, s43
	v_cndmask_b32_e64 v96, v96, v99, s44
	v_add_nc_u32_e32 v99, 1, v97
	s_delay_alu instid0(VALU_DEP_2) | instskip(SKIP_2) | instid1(VALU_DEP_3)
	v_bfi_b32 v96, 0x7fffffff, v96, v103
	v_cndmask_b32_e64 v103, 0, v100, s42
	s_wait_alu 0xfffd
	v_cndmask_b32_e32 v97, v97, v99, vcc_lo
	v_cmp_gt_f32_e32 vcc_lo, 0, v100
	v_cndmask_b32_e64 v98, 0x7fc00000, v96, s40
	v_cmp_class_f32_e64 s40, v100, 0x204
	v_bfi_b32 v99, 0x7fffffff, v102, v103
	v_xor_b32_e32 v97, v97, v87
	s_wait_alu 0xfffd
	v_cndmask_b32_e32 v96, v96, v98, vcc_lo
	s_or_b32 vcc_lo, s41, s40
	s_delay_alu instid0(VALU_DEP_2) | instskip(SKIP_1) | instid1(VALU_DEP_2)
	v_sub_nc_u32_e32 v87, v97, v87
	s_wait_alu 0xfffe
	v_cndmask_b32_e32 v96, v96, v99, vcc_lo
	v_cmp_o_f32_e32 vcc_lo, v100, v100
	s_delay_alu instid0(VALU_DEP_3) | instskip(SKIP_1) | instid1(VALU_DEP_3)
	v_cvt_f32_i32_e32 v87, v87
	s_wait_alu 0xfffd
	v_cndmask_b32_e32 v96, 0x7fc00000, v96, vcc_lo
	v_cmp_eq_u32_e32 vcc_lo, s74, v13
	s_add_co_i32 s74, s74, 1
	s_delay_alu instid0(VALU_DEP_2) | instskip(SKIP_1) | instid1(VALU_DEP_1)
	v_mul_f32_e32 v87, v96, v87
	s_or_b32 s73, vcc_lo, s73
	v_fmac_f32_e32 v80, v86, v87
	s_wait_alu 0xfffe
	s_and_not1_b32 exec_lo, exec_lo, s73
	s_cbranch_execz .LBB0_270
.LBB0_244:                              ;   Parent Loop BB0_225 Depth=1
                                        ; =>  This Loop Header: Depth=2
                                        ;       Child Loop BB0_247 Depth 3
                                        ;         Child Loop BB0_249 Depth 4
                                        ;         Child Loop BB0_253 Depth 4
	;; [unrolled: 1-line block ×3, first 2 shown]
                                        ;       Child Loop BB0_260 Depth 3
                                        ;       Child Loop BB0_265 Depth 3
	;; [unrolled: 1-line block ×3, first 2 shown]
	v_mov_b32_e32 v86, 0
	s_and_saveexec_b32 s75, s1
	s_cbranch_execz .LBB0_258
; %bb.245:                              ;   in Loop: Header=BB0_244 Depth=2
	s_wait_alu 0xfffe
	v_lshl_add_u32 v87, s74, 2, v55
	v_mov_b32_e32 v86, 0
	v_mov_b32_e32 v96, v26
	s_mov_b32 s76, 0
	s_mov_b32 s77, 0
	s_branch .LBB0_247
.LBB0_246:                              ;   in Loop: Header=BB0_247 Depth=3
	s_wait_alu 0xfffe
	s_or_b32 exec_lo, exec_lo, s41
	v_cvt_f32_i32_e32 v99, v99
	s_mul_i32 s41, s77, 28
	v_mul_lo_u32 v98, v98, s40
	v_sub_nc_u32_e32 v130, 0, v97
	v_add_nc_u32_e32 v96, -1, v96
	v_cndmask_b32_e64 v101, v99, 1.0, s7
	s_delay_alu instid0(VALU_DEP_3) | instskip(NEXT) | instid1(VALU_DEP_2)
	v_max_i32_e32 v130, v97, v130
	v_cmp_neq_f32_e32 vcc_lo, 0, v101
	v_xor_b32_e32 v97, v97, v98
	s_wait_alu 0xfffd
	v_cndmask_b32_e32 v102, 1.0, v2, vcc_lo
	s_delay_alu instid0(VALU_DEP_2) | instskip(NEXT) | instid1(VALU_DEP_2)
	v_ashrrev_i32_e32 v97, 31, v97
	v_frexp_mant_f32_e64 v99, |v102|
	s_delay_alu instid0(VALU_DEP_1) | instskip(SKIP_2) | instid1(VALU_DEP_1)
	v_cmp_gt_f32_e32 vcc_lo, 0x3f2aaaab, v99
	s_wait_alu 0xfffd
	v_cndmask_b32_e64 v100, 1.0, 2.0, vcc_lo
	v_mul_f32_e32 v99, v99, v100
	s_delay_alu instid0(VALU_DEP_1) | instskip(SKIP_1) | instid1(VALU_DEP_2)
	v_add_f32_e32 v100, 1.0, v99
	v_add_f32_e32 v112, -1.0, v99
	v_add_f32_e32 v114, -1.0, v100
	s_delay_alu instid0(VALU_DEP_1) | instskip(SKIP_1) | instid1(TRANS32_DEP_1)
	v_sub_f32_e32 v99, v99, v114
	v_rcp_f32_e32 v103, v100
	v_mul_f32_e32 v113, v112, v103
	s_delay_alu instid0(VALU_DEP_1) | instskip(NEXT) | instid1(VALU_DEP_1)
	v_mul_f32_e32 v115, v100, v113
	v_fma_f32 v100, v113, v100, -v115
	s_delay_alu instid0(VALU_DEP_1) | instskip(NEXT) | instid1(VALU_DEP_1)
	v_fmac_f32_e32 v100, v113, v99
	v_add_f32_e32 v99, v115, v100
	s_delay_alu instid0(VALU_DEP_1) | instskip(NEXT) | instid1(VALU_DEP_1)
	v_sub_f32_e32 v114, v112, v99
	v_dual_sub_f32 v112, v112, v114 :: v_dual_sub_f32 v115, v99, v115
	s_delay_alu instid0(VALU_DEP_1) | instskip(NEXT) | instid1(VALU_DEP_1)
	v_dual_sub_f32 v99, v112, v99 :: v_dual_sub_f32 v100, v115, v100
	v_add_f32_e32 v99, v100, v99
	s_delay_alu instid0(VALU_DEP_1) | instskip(NEXT) | instid1(VALU_DEP_1)
	v_add_f32_e32 v99, v114, v99
	v_mul_f32_e32 v99, v103, v99
	scratch_load_b32 v103, v87, s41
	v_add_f32_e32 v112, v113, v99
	s_delay_alu instid0(VALU_DEP_1) | instskip(NEXT) | instid1(VALU_DEP_1)
	v_sub_f32_e32 v100, v112, v113
	v_sub_f32_e32 v114, v99, v100
	s_delay_alu instid0(VALU_DEP_1) | instskip(SKIP_1) | instid1(VALU_DEP_1)
	v_add_f32_e32 v99, v114, v114
	v_mul_f32_e32 v113, v112, v112
	v_fma_f32 v115, v112, v112, -v113
	s_delay_alu instid0(VALU_DEP_1) | instskip(SKIP_1) | instid1(VALU_DEP_2)
	v_fmac_f32_e32 v115, v112, v99
	v_cvt_f64_f32_e64 v[99:100], |v102|
	v_add_f32_e32 v116, v113, v115
	s_delay_alu instid0(VALU_DEP_1) | instskip(NEXT) | instid1(VALU_DEP_1)
	v_sub_f32_e32 v113, v116, v113
	v_sub_f32_e32 v113, v115, v113
	v_fmaak_f32 v117, s61, v116, 0x3e91f4c4
	v_mul_f32_e32 v128, v112, v116
	s_delay_alu instid0(VALU_DEP_2) | instskip(NEXT) | instid1(VALU_DEP_1)
	v_fmaak_f32 v117, v116, v117, 0x3ecccdef
	v_mul_f32_e32 v118, v116, v117
	s_delay_alu instid0(VALU_DEP_1) | instskip(NEXT) | instid1(VALU_DEP_1)
	v_fma_f32 v115, v116, v117, -v118
	v_fmac_f32_e32 v115, v113, v117
	v_frexp_exp_i32_f64_e32 v99, v[99:100]
	s_delay_alu instid0(VALU_DEP_2) | instskip(NEXT) | instid1(VALU_DEP_1)
	v_add_f32_e32 v117, v118, v115
	v_sub_f32_e32 v118, v117, v118
	s_delay_alu instid0(VALU_DEP_1) | instskip(SKIP_1) | instid1(VALU_DEP_2)
	v_sub_f32_e32 v100, v115, v118
	v_fma_f32 v118, v116, v112, -v128
	v_add_f32_e32 v100, 0x31739010, v100
	s_delay_alu instid0(VALU_DEP_2) | instskip(SKIP_1) | instid1(VALU_DEP_2)
	v_dual_fmac_f32 v118, v116, v114 :: v_dual_add_f32 v119, 0x3f2aaaaa, v117
	v_ldexp_f32 v114, v114, 1
	v_dual_fmac_f32 v118, v113, v112 :: v_dual_add_f32 v115, 0xbf2aaaaa, v119
	s_delay_alu instid0(VALU_DEP_1) | instskip(NEXT) | instid1(VALU_DEP_1)
	v_sub_f32_e32 v115, v117, v115
	v_add_f32_e32 v100, v100, v115
	v_subrev_co_ci_u32_e64 v99, null, 0, v99, vcc_lo
	s_delay_alu instid0(VALU_DEP_2) | instskip(SKIP_1) | instid1(VALU_DEP_3)
	v_add_f32_e32 v113, v119, v100
	v_add_f32_e32 v115, v128, v118
	v_cvt_f32_i32_e32 v99, v99
	s_delay_alu instid0(VALU_DEP_3) | instskip(NEXT) | instid1(VALU_DEP_3)
	v_sub_f32_e32 v116, v119, v113
	v_sub_f32_e32 v119, v115, v128
	s_delay_alu instid0(VALU_DEP_2) | instskip(NEXT) | instid1(VALU_DEP_2)
	v_add_f32_e32 v100, v100, v116
	v_dual_sub_f32 v118, v118, v119 :: v_dual_mul_f32 v117, v115, v113
	s_delay_alu instid0(VALU_DEP_1) | instskip(NEXT) | instid1(VALU_DEP_1)
	v_fma_f32 v116, v115, v113, -v117
	v_fmac_f32_e32 v116, v115, v100
	v_ldexp_f32 v100, v112, 1
	s_delay_alu instid0(VALU_DEP_2) | instskip(NEXT) | instid1(VALU_DEP_1)
	v_fmac_f32_e32 v116, v118, v113
	v_add_f32_e32 v112, v117, v116
	s_delay_alu instid0(VALU_DEP_1) | instskip(NEXT) | instid1(VALU_DEP_1)
	v_add_f32_e32 v113, v100, v112
	v_dual_sub_f32 v100, v113, v100 :: v_dual_sub_f32 v115, v112, v117
	s_delay_alu instid0(VALU_DEP_1) | instskip(NEXT) | instid1(VALU_DEP_2)
	v_dual_mul_f32 v117, 0x3f317218, v99 :: v_dual_sub_f32 v100, v112, v100
	v_sub_f32_e32 v115, v116, v115
	s_delay_alu instid0(VALU_DEP_2) | instskip(NEXT) | instid1(VALU_DEP_2)
	v_fma_f32 v116, 0x3f317218, v99, -v117
	v_add_f32_e32 v112, v114, v115
	s_delay_alu instid0(VALU_DEP_1) | instskip(NEXT) | instid1(VALU_DEP_1)
	v_dual_fmac_f32 v116, 0xb102e308, v99 :: v_dual_add_f32 v99, v112, v100
	v_add_f32_e32 v100, v117, v116
	s_delay_alu instid0(VALU_DEP_1) | instskip(NEXT) | instid1(VALU_DEP_1)
	v_dual_add_f32 v112, v113, v99 :: v_dual_sub_f32 v117, v100, v117
	v_add_f32_e32 v114, v100, v112
	s_delay_alu instid0(VALU_DEP_1) | instskip(NEXT) | instid1(VALU_DEP_1)
	v_dual_sub_f32 v116, v116, v117 :: v_dual_sub_f32 v115, v114, v100
	v_dual_sub_f32 v113, v112, v113 :: v_dual_sub_f32 v118, v114, v115
	s_delay_alu instid0(VALU_DEP_1) | instskip(NEXT) | instid1(VALU_DEP_2)
	v_dual_sub_f32 v99, v99, v113 :: v_dual_sub_f32 v112, v112, v115
	v_sub_f32_e32 v100, v100, v118
	s_delay_alu instid0(VALU_DEP_2) | instskip(NEXT) | instid1(VALU_DEP_2)
	v_add_f32_e32 v113, v116, v99
	v_add_f32_e32 v100, v112, v100
	s_delay_alu instid0(VALU_DEP_2) | instskip(NEXT) | instid1(VALU_DEP_2)
	v_sub_f32_e32 v112, v113, v116
	v_add_f32_e32 v100, v113, v100
	s_delay_alu instid0(VALU_DEP_2) | instskip(SKIP_1) | instid1(VALU_DEP_2)
	v_sub_f32_e32 v113, v113, v112
	v_sub_f32_e32 v99, v99, v112
	v_dual_add_f32 v115, v114, v100 :: v_dual_sub_f32 v112, v116, v113
	s_delay_alu instid0(VALU_DEP_1) | instskip(NEXT) | instid1(VALU_DEP_2)
	v_sub_f32_e32 v113, v115, v114
	v_add_f32_e32 v99, v99, v112
	v_sub_nc_u32_e32 v114, 0, v98
	s_delay_alu instid0(VALU_DEP_3) | instskip(NEXT) | instid1(VALU_DEP_1)
	v_sub_f32_e32 v100, v100, v113
	v_add_f32_e32 v99, v99, v100
	s_delay_alu instid0(VALU_DEP_1) | instskip(NEXT) | instid1(VALU_DEP_1)
	v_add_f32_e32 v100, v115, v99
	v_dual_sub_f32 v112, v100, v115 :: v_dual_mul_f32 v113, v101, v100
	s_delay_alu instid0(VALU_DEP_1) | instskip(NEXT) | instid1(VALU_DEP_2)
	v_sub_f32_e32 v99, v99, v112
	v_fma_f32 v100, v101, v100, -v113
	v_max_i32_e32 v112, v98, v114
	v_cmp_class_f32_e64 vcc_lo, v113, 0x204
	v_trunc_f32_e32 v98, v101
	s_delay_alu instid0(VALU_DEP_4) | instskip(NEXT) | instid1(VALU_DEP_4)
	v_fmac_f32_e32 v100, v101, v99
	v_cvt_f32_u32_e32 v99, v112
	v_sub_nc_u32_e32 v117, 0, v112
	s_delay_alu instid0(VALU_DEP_4) | instskip(NEXT) | instid1(VALU_DEP_4)
	v_cmp_eq_f32_e64 s40, v98, v101
	v_add_f32_e32 v114, v113, v100
	s_delay_alu instid0(VALU_DEP_4) | instskip(SKIP_1) | instid1(VALU_DEP_1)
	v_rcp_iflag_f32_e32 v99, v99
	s_wait_alu 0xfffd
	v_cndmask_b32_e32 v115, v114, v113, vcc_lo
	s_delay_alu instid0(VALU_DEP_1) | instskip(NEXT) | instid1(TRANS32_DEP_1)
	v_cmp_eq_f32_e32 vcc_lo, 0x42b17218, v115
	v_mul_f32_e32 v99, 0x4f7ffffe, v99
	v_cmp_neq_f32_e64 s41, 0x7f800000, |v115|
	s_wait_alu 0xfffd
	v_cndmask_b32_e64 v116, 0, 0x37000000, vcc_lo
	s_delay_alu instid0(VALU_DEP_3) | instskip(SKIP_1) | instid1(VALU_DEP_3)
	v_cvt_u32_f32_e32 v99, v99
	v_cmp_gt_f32_e32 vcc_lo, 0, v101
	v_sub_f32_e32 v118, v115, v116
	s_delay_alu instid0(VALU_DEP_3) | instskip(NEXT) | instid1(VALU_DEP_2)
	v_mul_lo_u32 v117, v117, v99
	v_mul_f32_e32 v119, 0x3fb8aa3b, v118
	s_delay_alu instid0(VALU_DEP_2) | instskip(NEXT) | instid1(VALU_DEP_2)
	v_mul_hi_u32 v117, v99, v117
	v_fma_f32 v128, 0x3fb8aa3b, v118, -v119
	v_rndne_f32_e32 v129, v119
	s_delay_alu instid0(VALU_DEP_1) | instskip(SKIP_2) | instid1(VALU_DEP_2)
	v_dual_fmac_f32 v128, 0x32a5705f, v118 :: v_dual_sub_f32 v119, v119, v129
	v_sub_f32_e32 v113, v114, v113
	v_cvt_i32_f32_e32 v114, v129
	v_dual_add_f32 v119, v119, v128 :: v_dual_sub_f32 v98, v100, v113
	s_wait_alu 0xf1fe
	s_delay_alu instid0(VALU_DEP_1) | instskip(SKIP_1) | instid1(VALU_DEP_3)
	v_cndmask_b32_e64 v98, 0, v98, s41
	v_add_nc_u32_e32 v99, v99, v117
	v_exp_f32_e32 v117, v119
	v_cmp_ngt_f32_e64 s41, 0xc2ce8ed0, v118
	s_delay_alu instid0(VALU_DEP_3) | instskip(NEXT) | instid1(VALU_DEP_3)
	v_add_f32_e32 v98, v116, v98
	v_mul_hi_u32 v99, v130, v99
	v_mul_f32_e32 v119, 0.5, v101
	s_delay_alu instid0(TRANS32_DEP_1) | instskip(NEXT) | instid1(VALU_DEP_3)
	v_ldexp_f32 v101, v117, v114
	v_mul_lo_u32 v100, v99, v112
	v_add_nc_u32_e32 v114, 1, v99
	s_delay_alu instid0(VALU_DEP_4) | instskip(SKIP_3) | instid1(VALU_DEP_3)
	v_trunc_f32_e32 v113, v119
	s_wait_alu 0xf1ff
	v_cndmask_b32_e64 v101, 0, v101, s41
	v_cmp_nlt_f32_e64 s41, 0x42b17218, v118
	v_cmp_neq_f32_e64 s42, v113, v119
	v_sub_nc_u32_e32 v100, v130, v100
	s_wait_alu 0xf1ff
	s_delay_alu instid0(VALU_DEP_3)
	v_cndmask_b32_e64 v101, 0x7f800000, v101, s41
	v_cmp_eq_f32_e64 s41, 0, v102
	s_and_b32 s42, s40, s42
	v_cmp_ge_u32_e64 s43, v100, v112
	v_fma_f32 v98, v101, v98, v101
	v_cmp_class_f32_e64 s44, v101, 0x204
	v_sub_nc_u32_e32 v113, v100, v112
	s_wait_alu 0xf1ff
	v_cndmask_b32_e64 v99, v99, v114, s43
	s_wait_alu 0xfffe
	v_cndmask_b32_e64 v114, 1.0, v102, s42
	v_cndmask_b32_e64 v98, v98, v101, s44
	v_cndmask_b32_e64 v100, v100, v113, s43
	s_xor_b32 s43, vcc_lo, s41
	s_wait_alu 0xfffe
	v_cndmask_b32_e64 v113, 0x7f800000, 0, s43
	v_bfi_b32 v98, 0x7fffffff, v98, v114
	v_cmp_ge_u32_e32 vcc_lo, v100, v112
	v_cndmask_b32_e64 v114, 0, v102, s42
	s_delay_alu instid0(VALU_DEP_3) | instskip(SKIP_3) | instid1(VALU_DEP_2)
	v_cndmask_b32_e64 v100, 0x7fc00000, v98, s40
	v_add_nc_u32_e32 v101, 1, v99
	v_cmp_class_f32_e64 s40, v102, 0x204
	s_wait_alu 0xfffd
	v_cndmask_b32_e32 v99, v99, v101, vcc_lo
	v_cmp_gt_f32_e32 vcc_lo, 0, v102
	v_bfi_b32 v101, 0x7fffffff, v113, v114
	s_delay_alu instid0(VALU_DEP_3) | instskip(SKIP_3) | instid1(VALU_DEP_2)
	v_xor_b32_e32 v99, v99, v97
	s_wait_alu 0xfffd
	v_cndmask_b32_e32 v98, v98, v100, vcc_lo
	s_or_b32 vcc_lo, s41, s40
	v_sub_nc_u32_e32 v97, v99, v97
	s_wait_alu 0xfffe
	s_delay_alu instid0(VALU_DEP_2) | instskip(SKIP_1) | instid1(VALU_DEP_3)
	v_cndmask_b32_e32 v98, v98, v101, vcc_lo
	v_cmp_o_f32_e32 vcc_lo, v102, v102
	v_cvt_f32_i32_e32 v97, v97
	s_wait_alu 0xfffd
	s_delay_alu instid0(VALU_DEP_3) | instskip(SKIP_2) | instid1(VALU_DEP_2)
	v_cndmask_b32_e32 v98, 0x7fc00000, v98, vcc_lo
	v_cmp_eq_u32_e32 vcc_lo, s77, v8
	s_add_co_i32 s77, s77, 1
	v_mul_f32_e32 v97, v98, v97
	s_or_b32 s76, vcc_lo, s76
	s_wait_loadcnt 0x0
	s_delay_alu instid0(VALU_DEP_1)
	v_fmac_f32_e32 v86, v103, v97
	s_wait_alu 0xfffe
	s_and_not1_b32 exec_lo, exec_lo, s76
	s_cbranch_execz .LBB0_262
.LBB0_247:                              ;   Parent Loop BB0_225 Depth=1
                                        ;     Parent Loop BB0_244 Depth=2
                                        ; =>    This Loop Header: Depth=3
                                        ;         Child Loop BB0_249 Depth 4
                                        ;         Child Loop BB0_253 Depth 4
	;; [unrolled: 1-line block ×3, first 2 shown]
	v_mov_b32_e32 v97, 1
	s_and_saveexec_b32 s40, s2
	s_cbranch_execz .LBB0_251
; %bb.248:                              ;   in Loop: Header=BB0_247 Depth=3
	s_mov_b32 s42, 1
	s_mov_b32 s41, 0
	;; [unrolled: 1-line block ×3, first 2 shown]
.LBB0_249:                              ;   Parent Loop BB0_225 Depth=1
                                        ;     Parent Loop BB0_244 Depth=2
                                        ;       Parent Loop BB0_247 Depth=3
                                        ; =>      This Inner Loop Header: Depth=4
	s_wait_alu 0xfffe
	s_add_co_i32 s42, s42, 1
	s_wait_alu 0xfffe
	v_cmp_eq_u32_e32 vcc_lo, s42, v8
	s_mul_i32 s43, s43, s42
	s_wait_alu 0xfffe
	v_mov_b32_e32 v97, s43
	s_or_b32 s41, vcc_lo, s41
	s_wait_alu 0xfffe
	s_and_not1_b32 exec_lo, exec_lo, s41
	s_cbranch_execnz .LBB0_249
; %bb.250:                              ;   in Loop: Header=BB0_247 Depth=3
	s_or_b32 exec_lo, exec_lo, s41
.LBB0_251:                              ;   in Loop: Header=BB0_247 Depth=3
	s_wait_alu 0xfffe
	s_or_b32 exec_lo, exec_lo, s40
	s_cmp_lt_u32 s77, 2
	s_mov_b32 s40, 1
	s_cbranch_scc1 .LBB0_254
; %bb.252:                              ;   in Loop: Header=BB0_247 Depth=3
	s_mov_b32 s41, 1
.LBB0_253:                              ;   Parent Loop BB0_225 Depth=1
                                        ;     Parent Loop BB0_244 Depth=2
                                        ;       Parent Loop BB0_247 Depth=3
                                        ; =>      This Inner Loop Header: Depth=4
	s_wait_alu 0xfffe
	s_add_co_i32 s41, s41, 1
	s_wait_alu 0xfffe
	s_cmp_lg_u32 s77, s41
	s_mul_i32 s40, s40, s41
	s_cbranch_scc1 .LBB0_253
.LBB0_254:                              ;   in Loop: Header=BB0_247 Depth=3
	v_subrev_nc_u32_e32 v99, s77, v8
	v_mov_b32_e32 v98, 1
	s_mov_b32 s41, exec_lo
	s_delay_alu instid0(VALU_DEP_2)
	v_cmpx_lt_i32_e32 1, v99
	s_cbranch_execz .LBB0_246
; %bb.255:                              ;   in Loop: Header=BB0_247 Depth=3
	s_mov_b32 s43, 1
	s_mov_b32 s42, 0
	;; [unrolled: 1-line block ×3, first 2 shown]
.LBB0_256:                              ;   Parent Loop BB0_225 Depth=1
                                        ;     Parent Loop BB0_244 Depth=2
                                        ;       Parent Loop BB0_247 Depth=3
                                        ; =>      This Inner Loop Header: Depth=4
	s_wait_alu 0xfffe
	s_add_co_i32 s78, s44, 2
	s_add_co_i32 s44, s44, 1
	s_wait_alu 0xfffe
	s_mul_i32 s43, s43, s78
	v_cmp_eq_u32_e32 vcc_lo, s44, v96
	s_wait_alu 0xfffe
	v_mov_b32_e32 v98, s43
	s_or_b32 s42, vcc_lo, s42
	s_wait_alu 0xfffe
	s_and_not1_b32 exec_lo, exec_lo, s42
	s_cbranch_execnz .LBB0_256
; %bb.257:                              ;   in Loop: Header=BB0_247 Depth=3
	s_or_b32 exec_lo, exec_lo, s42
	s_branch .LBB0_246
.LBB0_258:                              ;   in Loop: Header=BB0_244 Depth=2
	s_wait_alu 0xfffe
	s_or_b32 exec_lo, exec_lo, s75
	v_mov_b32_e32 v87, 1
	s_and_saveexec_b32 s40, s8
	s_cbranch_execz .LBB0_263
.LBB0_259:                              ;   in Loop: Header=BB0_244 Depth=2
	s_mov_b32 s42, 1
	s_mov_b32 s41, 0
	;; [unrolled: 1-line block ×3, first 2 shown]
.LBB0_260:                              ;   Parent Loop BB0_225 Depth=1
                                        ;     Parent Loop BB0_244 Depth=2
                                        ; =>    This Inner Loop Header: Depth=3
	s_wait_alu 0xfffe
	s_add_co_i32 s42, s42, 1
	s_wait_alu 0xfffe
	v_cmp_eq_u32_e32 vcc_lo, s42, v13
	s_mul_i32 s43, s43, s42
	s_wait_alu 0xfffe
	v_mov_b32_e32 v87, s43
	s_or_b32 s41, vcc_lo, s41
	s_wait_alu 0xfffe
	s_and_not1_b32 exec_lo, exec_lo, s41
	s_cbranch_execnz .LBB0_260
; %bb.261:                              ;   in Loop: Header=BB0_244 Depth=2
	s_or_b32 exec_lo, exec_lo, s41
	s_delay_alu instid0(SALU_CYCLE_1)
	s_or_b32 exec_lo, exec_lo, s40
	s_cmp_lt_u32 s74, 2
	s_mov_b32 s40, 1
	s_cbranch_scc1 .LBB0_266
	s_branch .LBB0_264
.LBB0_262:                              ;   in Loop: Header=BB0_244 Depth=2
	s_or_b32 exec_lo, exec_lo, s76
	s_delay_alu instid0(SALU_CYCLE_1)
	s_or_b32 exec_lo, exec_lo, s75
	v_mov_b32_e32 v87, 1
	s_and_saveexec_b32 s40, s8
	s_cbranch_execnz .LBB0_259
.LBB0_263:                              ;   in Loop: Header=BB0_244 Depth=2
	s_wait_alu 0xfffe
	s_or_b32 exec_lo, exec_lo, s40
	s_cmp_lt_u32 s74, 2
	s_mov_b32 s40, 1
	s_cbranch_scc1 .LBB0_266
.LBB0_264:                              ;   in Loop: Header=BB0_244 Depth=2
	s_mov_b32 s41, 1
.LBB0_265:                              ;   Parent Loop BB0_225 Depth=1
                                        ;     Parent Loop BB0_244 Depth=2
                                        ; =>    This Inner Loop Header: Depth=3
	s_wait_alu 0xfffe
	s_add_co_i32 s41, s41, 1
	s_wait_alu 0xfffe
	s_cmp_lg_u32 s74, s41
	s_mul_i32 s40, s40, s41
	s_cbranch_scc1 .LBB0_265
.LBB0_266:                              ;   in Loop: Header=BB0_244 Depth=2
	v_subrev_nc_u32_e32 v97, s74, v13
	v_mov_b32_e32 v96, 1
	s_mov_b32 s41, exec_lo
	s_delay_alu instid0(VALU_DEP_2)
	v_cmpx_lt_i32_e32 1, v97
	s_cbranch_execz .LBB0_243
; %bb.267:                              ;   in Loop: Header=BB0_244 Depth=2
	s_mov_b32 s43, 1
	s_mov_b32 s42, 0
	;; [unrolled: 1-line block ×3, first 2 shown]
.LBB0_268:                              ;   Parent Loop BB0_225 Depth=1
                                        ;     Parent Loop BB0_244 Depth=2
                                        ; =>    This Inner Loop Header: Depth=3
	s_wait_alu 0xfffe
	s_add_co_i32 s75, s44, 2
	s_add_co_i32 s44, s44, 1
	s_wait_alu 0xfffe
	s_mul_i32 s43, s43, s75
	v_cmp_eq_u32_e32 vcc_lo, s44, v85
	s_wait_alu 0xfffe
	v_mov_b32_e32 v96, s43
	s_or_b32 s42, vcc_lo, s42
	s_wait_alu 0xfffe
	s_and_not1_b32 exec_lo, exec_lo, s42
	s_cbranch_execnz .LBB0_268
; %bb.269:                              ;   in Loop: Header=BB0_244 Depth=2
	s_or_b32 exec_lo, exec_lo, s42
	s_branch .LBB0_243
.LBB0_270:                              ;   in Loop: Header=BB0_225 Depth=1
	s_or_b32 exec_lo, exec_lo, s73
.LBB0_271:                              ;   in Loop: Header=BB0_225 Depth=1
	s_wait_alu 0xfffe
	s_or_b32 exec_lo, exec_lo, s72
	v_mul_f32_e32 v85, v34, v84
	v_mul_f32_e32 v87, v64, v81
	scratch_store_b32 off, v66, s32 offset:64
	v_cvt_f64_f32_e32 v[85:86], v85
	v_cvt_f64_f32_e32 v[96:97], v87
	s_delay_alu instid0(VALU_DEP_1) | instskip(NEXT) | instid1(VALU_DEP_1)
	v_fma_f64 v[85:86], v[96:97], 2.0, v[85:86]
	v_cvt_f32_f64_e32 v86, v[85:86]
	s_and_saveexec_b32 s40, s10
	s_cbranch_execz .LBB0_273
; %bb.272:                              ;   in Loop: Header=BB0_225 Depth=1
	s_delay_alu instid0(VALU_DEP_1)
	v_mul_f32_e32 v85, v66, v86
	scratch_store_b32 off, v85, s32 offset:92
.LBB0_273:                              ;   in Loop: Header=BB0_225 Depth=1
	s_wait_alu 0xfffe
	s_or_b32 exec_lo, exec_lo, s40
	v_mul_f32_e32 v85, v52, v84
	v_mul_f32_e32 v87, v65, v81
	s_delay_alu instid0(VALU_DEP_2) | instskip(NEXT) | instid1(VALU_DEP_2)
	v_cvt_f64_f32_e32 v[96:97], v85
	v_cvt_f64_f32_e32 v[98:99], v87
	s_delay_alu instid0(VALU_DEP_1) | instskip(NEXT) | instid1(VALU_DEP_1)
	v_fma_f64 v[96:97], v[98:99], 2.0, v[96:97]
	v_cvt_f32_f64_e32 v85, v[96:97]
	s_and_saveexec_b32 s40, s11
	s_cbranch_execz .LBB0_275
; %bb.274:                              ;   in Loop: Header=BB0_225 Depth=1
	s_delay_alu instid0(VALU_DEP_1)
	v_mul_f32_e32 v87, v66, v85
	scratch_store_b32 off, v87, s32 offset:68
.LBB0_275:                              ;   in Loop: Header=BB0_225 Depth=1
	s_wait_alu 0xfffe
	s_or_b32 exec_lo, exec_lo, s40
	s_and_saveexec_b32 s40, s12
	s_cbranch_execz .LBB0_278
; %bb.276:                              ;   in Loop: Header=BB0_225 Depth=1
	scratch_load_b32 v87, off, s32 offset:92
	s_mov_b32 s41, 1
	s_mov_b32 s42, 0
	;; [unrolled: 1-line block ×3, first 2 shown]
.LBB0_277:                              ;   Parent Loop BB0_225 Depth=1
                                        ; =>  This Inner Loop Header: Depth=2
	scratch_load_b32 v96, off, s43 offset:-56
	s_wait_alu 0xfffe
	s_cvt_f32_i32 s44, s41
	s_add_co_i32 s41, s41, 1
	s_wait_alu 0xfffe
	v_cmp_eq_u32_e32 vcc_lo, s41, v33
	v_mul_f32_e32 v97, s44, v83
	s_wait_loadcnt 0x0
	s_delay_alu instid0(VALU_DEP_1) | instskip(NEXT) | instid1(VALU_DEP_1)
	v_mul_f32_e32 v96, v96, v97
	v_fmac_f32_e32 v96, v87, v86
	s_delay_alu instid0(VALU_DEP_1)
	v_mov_b32_e32 v87, v96
	scratch_store_b32 off, v96, s43
	s_add_co_i32 s43, s43, 28
	s_or_b32 s42, vcc_lo, s42
	s_wait_alu 0xfffe
	s_and_not1_b32 exec_lo, exec_lo, s42
	s_cbranch_execnz .LBB0_277
.LBB0_278:                              ;   in Loop: Header=BB0_225 Depth=1
	s_wait_alu 0xfffe
	s_or_b32 exec_lo, exec_lo, s40
	s_and_saveexec_b32 s40, s13
	s_cbranch_execz .LBB0_281
; %bb.279:                              ;   in Loop: Header=BB0_225 Depth=1
	scratch_load_b32 v86, off, s32 offset:68
	s_mov_b32 s41, 1
	s_mov_b32 s42, 0
	s_mov_b32 s43, s60
.LBB0_280:                              ;   Parent Loop BB0_225 Depth=1
                                        ; =>  This Inner Loop Header: Depth=2
	scratch_load_b32 v87, off, s43 offset:-8
	s_wait_alu 0xfffe
	s_cvt_f32_i32 s44, s41
	s_add_co_i32 s41, s41, 1
	s_wait_alu 0xfffe
	v_cmp_eq_u32_e32 vcc_lo, s41, v51
	v_mul_f32_e32 v96, s44, v82
	s_wait_loadcnt 0x0
	s_delay_alu instid0(VALU_DEP_1) | instskip(NEXT) | instid1(VALU_DEP_1)
	v_mul_f32_e32 v87, v87, v96
	v_fmac_f32_e32 v87, v86, v85
	s_delay_alu instid0(VALU_DEP_1)
	v_mov_b32_e32 v86, v87
	scratch_store_b32 off, v87, s43
	s_add_co_i32 s43, s43, 4
	s_or_b32 s42, vcc_lo, s42
	s_wait_alu 0xfffe
	s_and_not1_b32 exec_lo, exec_lo, s42
	s_cbranch_execnz .LBB0_280
.LBB0_281:                              ;   in Loop: Header=BB0_225 Depth=1
	s_wait_alu 0xfffe
	s_or_b32 exec_lo, exec_lo, s40
	s_and_saveexec_b32 s40, s57
	s_cbranch_execz .LBB0_287
; %bb.282:                              ;   in Loop: Header=BB0_225 Depth=1
	s_mov_b32 s43, 1
	s_mov_b32 s41, 0
	;; [unrolled: 1-line block ×3, first 2 shown]
	s_branch .LBB0_284
.LBB0_283:                              ;   in Loop: Header=BB0_284 Depth=2
	s_wait_alu 0xfffe
	s_or_b32 exec_lo, exec_lo, s44
	v_cmp_eq_u32_e32 vcc_lo, s43, v33
	s_add_co_i32 s43, s43, 1
	s_add_co_i32 s42, s42, 28
	s_or_b32 s41, vcc_lo, s41
	s_wait_alu 0xfffe
	s_and_not1_b32 exec_lo, exec_lo, s41
	s_cbranch_execz .LBB0_287
.LBB0_284:                              ;   Parent Loop BB0_225 Depth=1
                                        ; =>  This Loop Header: Depth=2
                                        ;       Child Loop BB0_286 Depth 3
	s_wait_alu 0xfffe
	s_mul_i32 s44, s43, 28
	s_wait_alu 0xfffe
	s_add_co_i32 s72, s32, s44
	s_wait_alu 0xfffe
	s_add_co_i32 s44, s72, 64
	s_cvt_f32_u32 s72, s43
	s_clause 0x1
	scratch_load_b32 v87, off, s44
	scratch_load_b32 v96, off, s44 offset:-28
	s_wait_alu 0xfffe
	v_mul_f32_e32 v86, s72, v81
	s_wait_loadcnt 0x1
	v_mul_f32_e32 v87, v87, v85
	s_wait_loadcnt 0x0
	s_delay_alu instid0(VALU_DEP_1)
	v_fmac_f32_e32 v87, v96, v86
	scratch_store_b32 off, v87, s44 offset:4
	s_and_saveexec_b32 s44, s13
	s_cbranch_execz .LBB0_283
; %bb.285:                              ;   in Loop: Header=BB0_284 Depth=2
	s_mov_b32 s72, 1
	s_mov_b32 s73, 0
	;; [unrolled: 1-line block ×3, first 2 shown]
.LBB0_286:                              ;   Parent Loop BB0_225 Depth=1
                                        ;     Parent Loop BB0_284 Depth=2
                                        ; =>    This Inner Loop Header: Depth=3
	s_clause 0x1
	scratch_load_b32 v96, off, s74
	scratch_load_b32 v97, off, s74 offset:-24
	s_wait_alu 0xfffe
	s_cvt_f32_i32 s75, s72
	s_add_co_i32 s72, s72, 1
	s_wait_alu 0xfffe
	v_cmp_eq_u32_e32 vcc_lo, s72, v51
	v_mul_f32_e32 v98, s75, v82
	s_wait_loadcnt 0x1
	s_delay_alu instid0(VALU_DEP_1) | instskip(SKIP_1) | instid1(VALU_DEP_1)
	v_mul_f32_e32 v96, v96, v98
	s_wait_loadcnt 0x0
	v_fmac_f32_e32 v96, v86, v97
	s_delay_alu instid0(VALU_DEP_1) | instskip(NEXT) | instid1(VALU_DEP_1)
	v_fmac_f32_e32 v96, v87, v85
	v_mov_b32_e32 v87, v96
	scratch_store_b32 off, v96, s74 offset:8
	s_add_co_i32 s74, s74, 4
	s_or_b32 s73, vcc_lo, s73
	s_wait_alu 0xfffe
	s_and_not1_b32 exec_lo, exec_lo, s73
	s_cbranch_execnz .LBB0_286
	s_branch .LBB0_283
.LBB0_287:                              ;   in Loop: Header=BB0_225 Depth=1
	s_wait_alu 0xfffe
	s_or_b32 exec_lo, exec_lo, s40
	v_mov_b32_e32 v85, 0
	s_and_saveexec_b32 s72, s14
	s_cbranch_execz .LBB0_317
; %bb.288:                              ;   in Loop: Header=BB0_225 Depth=1
	v_dual_mov_b32 v85, 0 :: v_dual_mov_b32 v86, v69
	s_mov_b32 s73, 0
	s_mov_b32 s74, 0
	s_branch .LBB0_290
.LBB0_289:                              ;   in Loop: Header=BB0_290 Depth=2
	s_wait_alu 0xfffe
	s_or_b32 exec_lo, exec_lo, s41
	v_cvt_f32_i32_e32 v98, v98
	v_mul_lo_u32 v97, v97, s40
	v_sub_nc_u32_e32 v128, 0, v96
	v_add_nc_u32_e32 v86, -1, v86
	s_delay_alu instid0(VALU_DEP_4) | instskip(NEXT) | instid1(VALU_DEP_3)
	v_cndmask_b32_e64 v100, v98, 1.0, s19
	v_max_i32_e32 v128, v96, v128
	v_xor_b32_e32 v96, v96, v97
	s_delay_alu instid0(VALU_DEP_3) | instskip(NEXT) | instid1(VALU_DEP_2)
	v_cmp_neq_f32_e32 vcc_lo, 0, v100
	v_ashrrev_i32_e32 v96, 31, v96
	s_wait_alu 0xfffd
	v_cndmask_b32_e32 v101, 1.0, v7, vcc_lo
	s_delay_alu instid0(VALU_DEP_1) | instskip(NEXT) | instid1(VALU_DEP_1)
	v_frexp_mant_f32_e64 v98, |v101|
	v_cmp_gt_f32_e32 vcc_lo, 0x3f2aaaab, v98
	s_wait_alu 0xfffd
	v_cndmask_b32_e64 v99, 1.0, 2.0, vcc_lo
	s_delay_alu instid0(VALU_DEP_1) | instskip(NEXT) | instid1(VALU_DEP_1)
	v_mul_f32_e32 v98, v98, v99
	v_add_f32_e32 v99, 1.0, v98
	v_add_f32_e32 v103, -1.0, v98
	s_delay_alu instid0(VALU_DEP_2) | instskip(NEXT) | instid1(VALU_DEP_1)
	v_add_f32_e32 v113, -1.0, v99
	v_sub_f32_e32 v98, v98, v113
	v_rcp_f32_e32 v102, v99
	s_delay_alu instid0(TRANS32_DEP_1) | instskip(NEXT) | instid1(VALU_DEP_1)
	v_mul_f32_e32 v112, v103, v102
	v_mul_f32_e32 v114, v99, v112
	s_delay_alu instid0(VALU_DEP_1) | instskip(NEXT) | instid1(VALU_DEP_1)
	v_fma_f32 v99, v112, v99, -v114
	v_fmac_f32_e32 v99, v112, v98
	s_delay_alu instid0(VALU_DEP_1) | instskip(NEXT) | instid1(VALU_DEP_1)
	v_add_f32_e32 v98, v114, v99
	v_sub_f32_e32 v113, v103, v98
	s_delay_alu instid0(VALU_DEP_1) | instskip(NEXT) | instid1(VALU_DEP_1)
	v_dual_sub_f32 v114, v98, v114 :: v_dual_sub_f32 v103, v103, v113
	v_dual_sub_f32 v99, v114, v99 :: v_dual_sub_f32 v98, v103, v98
	s_delay_alu instid0(VALU_DEP_1) | instskip(NEXT) | instid1(VALU_DEP_1)
	v_add_f32_e32 v98, v99, v98
	v_add_f32_e32 v98, v113, v98
	s_delay_alu instid0(VALU_DEP_1) | instskip(NEXT) | instid1(VALU_DEP_1)
	v_mul_f32_e32 v98, v102, v98
	v_add_f32_e32 v102, v112, v98
	s_delay_alu instid0(VALU_DEP_1) | instskip(NEXT) | instid1(VALU_DEP_1)
	v_sub_f32_e32 v99, v102, v112
	v_sub_f32_e32 v112, v98, v99
	s_delay_alu instid0(VALU_DEP_1) | instskip(NEXT) | instid1(VALU_DEP_1)
	v_dual_mul_f32 v103, v102, v102 :: v_dual_add_f32 v98, v112, v112
	v_fma_f32 v113, v102, v102, -v103
	s_delay_alu instid0(VALU_DEP_1) | instskip(SKIP_1) | instid1(VALU_DEP_2)
	v_fmac_f32_e32 v113, v102, v98
	v_cvt_f64_f32_e64 v[98:99], |v101|
	v_add_f32_e32 v114, v103, v113
	s_delay_alu instid0(VALU_DEP_1) | instskip(SKIP_2) | instid1(VALU_DEP_3)
	v_fmaak_f32 v115, s61, v114, 0x3e91f4c4
	v_sub_f32_e32 v103, v114, v103
	v_mul_f32_e32 v118, v102, v114
	v_fmaak_f32 v115, v114, v115, 0x3ecccdef
	s_delay_alu instid0(VALU_DEP_3) | instskip(NEXT) | instid1(VALU_DEP_2)
	v_sub_f32_e32 v103, v113, v103
	v_mul_f32_e32 v116, v114, v115
	s_delay_alu instid0(VALU_DEP_1) | instskip(NEXT) | instid1(VALU_DEP_1)
	v_fma_f32 v113, v114, v115, -v116
	v_fmac_f32_e32 v113, v103, v115
	s_delay_alu instid0(VALU_DEP_1) | instskip(SKIP_1) | instid1(VALU_DEP_2)
	v_add_f32_e32 v115, v116, v113
	v_frexp_exp_i32_f64_e32 v98, v[98:99]
	v_sub_f32_e32 v116, v115, v116
	s_delay_alu instid0(VALU_DEP_1) | instskip(SKIP_1) | instid1(VALU_DEP_1)
	v_sub_f32_e32 v99, v113, v116
	v_fma_f32 v116, v114, v102, -v118
	v_dual_add_f32 v99, 0x31739010, v99 :: v_dual_fmac_f32 v116, v114, v112
	v_add_f32_e32 v117, 0x3f2aaaaa, v115
	v_ldexp_f32 v112, v112, 1
	s_delay_alu instid0(VALU_DEP_2) | instskip(NEXT) | instid1(VALU_DEP_1)
	v_dual_fmac_f32 v116, v103, v102 :: v_dual_add_f32 v113, 0xbf2aaaaa, v117
	v_sub_f32_e32 v113, v115, v113
	s_delay_alu instid0(VALU_DEP_1) | instskip(NEXT) | instid1(VALU_DEP_1)
	v_add_f32_e32 v99, v99, v113
	v_add_f32_e32 v103, v117, v99
	v_subrev_co_ci_u32_e64 v98, null, 0, v98, vcc_lo
	s_delay_alu instid0(VALU_DEP_2) | instskip(NEXT) | instid1(VALU_DEP_2)
	v_sub_f32_e32 v114, v117, v103
	v_cvt_f32_i32_e32 v98, v98
	v_add_f32_e32 v113, v118, v116
	s_delay_alu instid0(VALU_DEP_3) | instskip(NEXT) | instid1(VALU_DEP_2)
	v_add_f32_e32 v99, v99, v114
	v_mul_f32_e32 v115, v113, v103
	v_sub_f32_e32 v117, v113, v118
	s_delay_alu instid0(VALU_DEP_2) | instskip(NEXT) | instid1(VALU_DEP_2)
	v_fma_f32 v114, v113, v103, -v115
	v_sub_f32_e32 v116, v116, v117
	s_delay_alu instid0(VALU_DEP_2) | instskip(SKIP_1) | instid1(VALU_DEP_2)
	v_fmac_f32_e32 v114, v113, v99
	v_ldexp_f32 v99, v102, 1
	v_fmac_f32_e32 v114, v116, v103
	s_delay_alu instid0(VALU_DEP_1) | instskip(NEXT) | instid1(VALU_DEP_1)
	v_add_f32_e32 v102, v115, v114
	v_add_f32_e32 v103, v99, v102
	v_sub_f32_e32 v113, v102, v115
	v_mul_f32_e32 v115, 0x3f317218, v98
	s_delay_alu instid0(VALU_DEP_3) | instskip(NEXT) | instid1(VALU_DEP_3)
	v_sub_f32_e32 v99, v103, v99
	v_sub_f32_e32 v113, v114, v113
	s_delay_alu instid0(VALU_DEP_3) | instskip(NEXT) | instid1(VALU_DEP_2)
	v_fma_f32 v114, 0x3f317218, v98, -v115
	v_dual_sub_f32 v99, v102, v99 :: v_dual_add_f32 v102, v112, v113
	s_delay_alu instid0(VALU_DEP_2) | instskip(NEXT) | instid1(VALU_DEP_2)
	v_fmac_f32_e32 v114, 0xb102e308, v98
	v_add_f32_e32 v98, v102, v99
	s_delay_alu instid0(VALU_DEP_1) | instskip(NEXT) | instid1(VALU_DEP_1)
	v_add_f32_e32 v102, v103, v98
	v_sub_f32_e32 v103, v102, v103
	s_delay_alu instid0(VALU_DEP_1) | instskip(NEXT) | instid1(VALU_DEP_1)
	v_dual_sub_f32 v98, v98, v103 :: v_dual_add_f32 v99, v115, v114
	v_sub_f32_e32 v115, v99, v115
	s_delay_alu instid0(VALU_DEP_1) | instskip(SKIP_1) | instid1(VALU_DEP_2)
	v_sub_f32_e32 v114, v114, v115
	v_add_f32_e32 v112, v99, v102
	v_add_f32_e32 v103, v114, v98
	s_delay_alu instid0(VALU_DEP_2) | instskip(NEXT) | instid1(VALU_DEP_1)
	v_sub_f32_e32 v113, v112, v99
	v_sub_f32_e32 v116, v112, v113
	s_delay_alu instid0(VALU_DEP_1) | instskip(NEXT) | instid1(VALU_DEP_1)
	v_dual_sub_f32 v102, v102, v113 :: v_dual_sub_f32 v99, v99, v116
	v_dual_add_f32 v99, v102, v99 :: v_dual_sub_f32 v102, v103, v114
	s_delay_alu instid0(VALU_DEP_1) | instskip(NEXT) | instid1(VALU_DEP_2)
	v_add_f32_e32 v99, v103, v99
	v_sub_f32_e32 v103, v103, v102
	s_delay_alu instid0(VALU_DEP_2) | instskip(NEXT) | instid1(VALU_DEP_1)
	v_dual_sub_f32 v98, v98, v102 :: v_dual_add_f32 v113, v112, v99
	v_dual_sub_f32 v102, v114, v103 :: v_dual_sub_f32 v103, v113, v112
	s_delay_alu instid0(VALU_DEP_1) | instskip(SKIP_1) | instid1(VALU_DEP_3)
	v_add_f32_e32 v98, v98, v102
	v_sub_nc_u32_e32 v112, 0, v97
	v_sub_f32_e32 v99, v99, v103
	s_delay_alu instid0(VALU_DEP_1) | instskip(NEXT) | instid1(VALU_DEP_1)
	v_add_f32_e32 v98, v98, v99
	v_add_f32_e32 v99, v113, v98
	s_delay_alu instid0(VALU_DEP_1) | instskip(NEXT) | instid1(VALU_DEP_1)
	v_dual_sub_f32 v102, v99, v113 :: v_dual_mul_f32 v103, v100, v99
	v_sub_f32_e32 v98, v98, v102
	s_delay_alu instid0(VALU_DEP_2) | instskip(SKIP_3) | instid1(VALU_DEP_4)
	v_fma_f32 v99, v100, v99, -v103
	v_max_i32_e32 v102, v97, v112
	v_cmp_class_f32_e64 vcc_lo, v103, 0x204
	v_trunc_f32_e32 v97, v100
	v_fmac_f32_e32 v99, v100, v98
	s_delay_alu instid0(VALU_DEP_4) | instskip(SKIP_1) | instid1(VALU_DEP_4)
	v_cvt_f32_u32_e32 v98, v102
	v_sub_nc_u32_e32 v115, 0, v102
	v_cmp_eq_f32_e64 s40, v97, v100
	s_delay_alu instid0(VALU_DEP_4) | instskip(NEXT) | instid1(VALU_DEP_4)
	v_add_f32_e32 v112, v103, v99
	v_rcp_iflag_f32_e32 v98, v98
	s_wait_alu 0xfffd
	s_delay_alu instid0(VALU_DEP_1) | instskip(NEXT) | instid1(VALU_DEP_1)
	v_cndmask_b32_e32 v113, v112, v103, vcc_lo
	v_cmp_eq_f32_e32 vcc_lo, 0x42b17218, v113
	s_delay_alu instid0(TRANS32_DEP_1) | instskip(SKIP_3) | instid1(VALU_DEP_3)
	v_mul_f32_e32 v98, 0x4f7ffffe, v98
	v_cmp_neq_f32_e64 s41, 0x7f800000, |v113|
	s_wait_alu 0xfffd
	v_cndmask_b32_e64 v114, 0, 0x37000000, vcc_lo
	v_cvt_u32_f32_e32 v98, v98
	v_cmp_gt_f32_e32 vcc_lo, 0, v100
	s_delay_alu instid0(VALU_DEP_3) | instskip(NEXT) | instid1(VALU_DEP_3)
	v_sub_f32_e32 v116, v113, v114
	v_mul_lo_u32 v115, v115, v98
	s_delay_alu instid0(VALU_DEP_2) | instskip(SKIP_1) | instid1(VALU_DEP_3)
	v_mul_f32_e32 v117, 0x3fb8aa3b, v116
	v_sub_f32_e32 v103, v112, v103
	v_mul_hi_u32 v115, v98, v115
	s_delay_alu instid0(VALU_DEP_3) | instskip(SKIP_1) | instid1(VALU_DEP_2)
	v_fma_f32 v118, 0x3fb8aa3b, v116, -v117
	v_rndne_f32_e32 v119, v117
	v_dual_sub_f32 v97, v99, v103 :: v_dual_fmac_f32 v118, 0x32a5705f, v116
	s_delay_alu instid0(VALU_DEP_2)
	v_sub_f32_e32 v117, v117, v119
	v_add_nc_u32_e32 v98, v98, v115
	v_cvt_i32_f32_e32 v112, v119
	s_wait_alu 0xf1ff
	v_cndmask_b32_e64 v97, 0, v97, s41
	v_cmp_ngt_f32_e64 s41, 0xc2ce8ed0, v116
	v_add_f32_e32 v117, v117, v118
	v_mul_hi_u32 v98, v128, v98
	s_delay_alu instid0(VALU_DEP_4) | instskip(NEXT) | instid1(VALU_DEP_3)
	v_add_f32_e32 v97, v114, v97
	v_exp_f32_e32 v115, v117
	v_mul_f32_e32 v117, 0.5, v100
	s_delay_alu instid0(VALU_DEP_3) | instskip(NEXT) | instid1(VALU_DEP_2)
	v_mul_lo_u32 v99, v98, v102
	v_trunc_f32_e32 v103, v117
	s_delay_alu instid0(TRANS32_DEP_1) | instskip(NEXT) | instid1(VALU_DEP_2)
	v_ldexp_f32 v100, v115, v112
	v_cmp_neq_f32_e64 s42, v103, v117
	s_delay_alu instid0(VALU_DEP_4)
	v_sub_nc_u32_e32 v99, v128, v99
	v_add_nc_u32_e32 v112, 1, v98
	s_wait_alu 0xf1ff
	v_cndmask_b32_e64 v100, 0, v100, s41
	v_cmp_nlt_f32_e64 s41, 0x42b17218, v116
	v_cmp_ge_u32_e64 s43, v99, v102
	v_sub_nc_u32_e32 v103, v99, v102
	s_and_b32 s42, s40, s42
	v_cndmask_b32_e64 v100, 0x7f800000, v100, s41
	v_cmp_eq_f32_e64 s41, 0, v101
	v_cndmask_b32_e64 v98, v98, v112, s43
	s_wait_alu 0xfffe
	v_cndmask_b32_e64 v112, 1.0, v101, s42
	v_cndmask_b32_e64 v99, v99, v103, s43
	v_fma_f32 v97, v100, v97, v100
	v_cmp_class_f32_e64 s44, v100, 0x204
	s_xor_b32 s43, vcc_lo, s41
	v_cmp_ge_u32_e32 vcc_lo, v99, v102
	s_wait_alu 0xfffe
	v_cndmask_b32_e64 v103, 0x7f800000, 0, s43
	v_cndmask_b32_e64 v97, v97, v100, s44
	v_add_nc_u32_e32 v100, 1, v98
	s_delay_alu instid0(VALU_DEP_2) | instskip(SKIP_2) | instid1(VALU_DEP_3)
	v_bfi_b32 v97, 0x7fffffff, v97, v112
	v_cndmask_b32_e64 v112, 0, v101, s42
	s_wait_alu 0xfffd
	v_cndmask_b32_e32 v98, v98, v100, vcc_lo
	v_cmp_gt_f32_e32 vcc_lo, 0, v101
	v_cndmask_b32_e64 v99, 0x7fc00000, v97, s40
	v_cmp_class_f32_e64 s40, v101, 0x204
	v_bfi_b32 v100, 0x7fffffff, v103, v112
	v_xor_b32_e32 v98, v98, v96
	s_wait_alu 0xfffd
	v_cndmask_b32_e32 v97, v97, v99, vcc_lo
	s_or_b32 vcc_lo, s41, s40
	s_delay_alu instid0(VALU_DEP_2) | instskip(SKIP_1) | instid1(VALU_DEP_2)
	v_sub_nc_u32_e32 v96, v98, v96
	s_wait_alu 0xfffe
	v_cndmask_b32_e32 v97, v97, v100, vcc_lo
	v_cmp_o_f32_e32 vcc_lo, v101, v101
	s_delay_alu instid0(VALU_DEP_3) | instskip(SKIP_1) | instid1(VALU_DEP_3)
	v_cvt_f32_i32_e32 v96, v96
	s_wait_alu 0xfffd
	v_cndmask_b32_e32 v97, 0x7fc00000, v97, vcc_lo
	v_cmp_eq_u32_e32 vcc_lo, s74, v16
	s_add_co_i32 s74, s74, 1
	s_delay_alu instid0(VALU_DEP_2) | instskip(SKIP_1) | instid1(VALU_DEP_1)
	v_mul_f32_e32 v96, v97, v96
	s_or_b32 s73, vcc_lo, s73
	v_fmac_f32_e32 v85, v87, v96
	s_wait_alu 0xfffe
	s_and_not1_b32 exec_lo, exec_lo, s73
	s_cbranch_execz .LBB0_316
.LBB0_290:                              ;   Parent Loop BB0_225 Depth=1
                                        ; =>  This Loop Header: Depth=2
                                        ;       Child Loop BB0_293 Depth 3
                                        ;         Child Loop BB0_295 Depth 4
                                        ;         Child Loop BB0_299 Depth 4
	;; [unrolled: 1-line block ×3, first 2 shown]
                                        ;       Child Loop BB0_306 Depth 3
                                        ;       Child Loop BB0_311 Depth 3
	;; [unrolled: 1-line block ×3, first 2 shown]
	v_mov_b32_e32 v87, 0
	s_and_saveexec_b32 s75, s15
	s_cbranch_execz .LBB0_304
; %bb.291:                              ;   in Loop: Header=BB0_290 Depth=2
	s_wait_alu 0xfffe
	v_lshl_add_u32 v96, s74, 2, v27
	v_mov_b32_e32 v87, 0
	v_mov_b32_e32 v97, v49
	s_mov_b32 s76, 0
	s_mov_b32 s77, 0
	s_branch .LBB0_293
.LBB0_292:                              ;   in Loop: Header=BB0_293 Depth=3
	s_wait_alu 0xfffe
	s_or_b32 exec_lo, exec_lo, s41
	v_cvt_f32_i32_e32 v100, v100
	s_mul_i32 s41, s77, 28
	v_mul_lo_u32 v99, v99, s40
	v_sub_nc_u32_e32 v131, 0, v98
	v_add_nc_u32_e32 v97, -1, v97
	v_cndmask_b32_e64 v102, v100, 1.0, s17
	s_delay_alu instid0(VALU_DEP_3) | instskip(NEXT) | instid1(VALU_DEP_2)
	v_max_i32_e32 v131, v98, v131
	v_cmp_neq_f32_e32 vcc_lo, 0, v102
	v_xor_b32_e32 v98, v98, v99
	s_wait_alu 0xfffd
	v_cndmask_b32_e32 v103, 1.0, v39, vcc_lo
	s_delay_alu instid0(VALU_DEP_2) | instskip(NEXT) | instid1(VALU_DEP_2)
	v_ashrrev_i32_e32 v98, 31, v98
	v_frexp_mant_f32_e64 v100, |v103|
	s_delay_alu instid0(VALU_DEP_1) | instskip(SKIP_2) | instid1(VALU_DEP_1)
	v_cmp_gt_f32_e32 vcc_lo, 0x3f2aaaab, v100
	s_wait_alu 0xfffd
	v_cndmask_b32_e64 v101, 1.0, 2.0, vcc_lo
	v_mul_f32_e32 v100, v100, v101
	s_delay_alu instid0(VALU_DEP_1) | instskip(SKIP_1) | instid1(VALU_DEP_2)
	v_add_f32_e32 v101, 1.0, v100
	v_add_f32_e32 v113, -1.0, v100
	v_add_f32_e32 v115, -1.0, v101
	s_delay_alu instid0(VALU_DEP_1) | instskip(SKIP_1) | instid1(TRANS32_DEP_1)
	v_sub_f32_e32 v100, v100, v115
	v_rcp_f32_e32 v112, v101
	v_mul_f32_e32 v114, v113, v112
	s_delay_alu instid0(VALU_DEP_1) | instskip(NEXT) | instid1(VALU_DEP_1)
	v_mul_f32_e32 v116, v101, v114
	v_fma_f32 v101, v114, v101, -v116
	s_delay_alu instid0(VALU_DEP_1) | instskip(NEXT) | instid1(VALU_DEP_1)
	v_fmac_f32_e32 v101, v114, v100
	v_add_f32_e32 v100, v116, v101
	s_delay_alu instid0(VALU_DEP_1) | instskip(NEXT) | instid1(VALU_DEP_1)
	v_sub_f32_e32 v115, v113, v100
	v_dual_sub_f32 v113, v113, v115 :: v_dual_sub_f32 v116, v100, v116
	s_delay_alu instid0(VALU_DEP_1) | instskip(NEXT) | instid1(VALU_DEP_1)
	v_dual_sub_f32 v100, v113, v100 :: v_dual_sub_f32 v101, v116, v101
	v_add_f32_e32 v100, v101, v100
	s_delay_alu instid0(VALU_DEP_1) | instskip(NEXT) | instid1(VALU_DEP_1)
	v_add_f32_e32 v100, v115, v100
	v_mul_f32_e32 v100, v112, v100
	scratch_load_b32 v112, v96, s41
	v_add_f32_e32 v113, v114, v100
	s_delay_alu instid0(VALU_DEP_1) | instskip(NEXT) | instid1(VALU_DEP_1)
	v_sub_f32_e32 v101, v113, v114
	v_sub_f32_e32 v115, v100, v101
	s_delay_alu instid0(VALU_DEP_1) | instskip(SKIP_1) | instid1(VALU_DEP_1)
	v_add_f32_e32 v100, v115, v115
	v_mul_f32_e32 v114, v113, v113
	v_fma_f32 v116, v113, v113, -v114
	s_delay_alu instid0(VALU_DEP_1) | instskip(SKIP_1) | instid1(VALU_DEP_2)
	v_fmac_f32_e32 v116, v113, v100
	v_cvt_f64_f32_e64 v[100:101], |v103|
	v_add_f32_e32 v117, v114, v116
	s_delay_alu instid0(VALU_DEP_1) | instskip(NEXT) | instid1(VALU_DEP_1)
	v_sub_f32_e32 v114, v117, v114
	v_sub_f32_e32 v114, v116, v114
	v_fmaak_f32 v118, s61, v117, 0x3e91f4c4
	v_mul_f32_e32 v129, v113, v117
	s_delay_alu instid0(VALU_DEP_2) | instskip(NEXT) | instid1(VALU_DEP_1)
	v_fmaak_f32 v118, v117, v118, 0x3ecccdef
	v_mul_f32_e32 v119, v117, v118
	s_delay_alu instid0(VALU_DEP_1) | instskip(NEXT) | instid1(VALU_DEP_1)
	v_fma_f32 v116, v117, v118, -v119
	v_fmac_f32_e32 v116, v114, v118
	v_frexp_exp_i32_f64_e32 v100, v[100:101]
	s_delay_alu instid0(VALU_DEP_2) | instskip(NEXT) | instid1(VALU_DEP_1)
	v_add_f32_e32 v118, v119, v116
	v_sub_f32_e32 v119, v118, v119
	s_delay_alu instid0(VALU_DEP_1) | instskip(SKIP_1) | instid1(VALU_DEP_2)
	v_sub_f32_e32 v101, v116, v119
	v_fma_f32 v119, v117, v113, -v129
	v_add_f32_e32 v101, 0x31739010, v101
	s_delay_alu instid0(VALU_DEP_2) | instskip(SKIP_1) | instid1(VALU_DEP_2)
	v_dual_fmac_f32 v119, v117, v115 :: v_dual_add_f32 v128, 0x3f2aaaaa, v118
	v_ldexp_f32 v115, v115, 1
	v_dual_fmac_f32 v119, v114, v113 :: v_dual_add_f32 v116, 0xbf2aaaaa, v128
	s_delay_alu instid0(VALU_DEP_1) | instskip(NEXT) | instid1(VALU_DEP_1)
	v_sub_f32_e32 v116, v118, v116
	v_add_f32_e32 v101, v101, v116
	v_subrev_co_ci_u32_e64 v100, null, 0, v100, vcc_lo
	s_delay_alu instid0(VALU_DEP_2) | instskip(SKIP_1) | instid1(VALU_DEP_3)
	v_add_f32_e32 v114, v128, v101
	v_add_f32_e32 v116, v129, v119
	v_cvt_f32_i32_e32 v100, v100
	s_delay_alu instid0(VALU_DEP_3) | instskip(NEXT) | instid1(VALU_DEP_3)
	v_sub_f32_e32 v117, v128, v114
	v_sub_f32_e32 v128, v116, v129
	s_delay_alu instid0(VALU_DEP_2) | instskip(NEXT) | instid1(VALU_DEP_2)
	v_add_f32_e32 v101, v101, v117
	v_dual_sub_f32 v119, v119, v128 :: v_dual_mul_f32 v118, v116, v114
	s_delay_alu instid0(VALU_DEP_1) | instskip(NEXT) | instid1(VALU_DEP_1)
	v_fma_f32 v117, v116, v114, -v118
	v_fmac_f32_e32 v117, v116, v101
	v_ldexp_f32 v101, v113, 1
	s_delay_alu instid0(VALU_DEP_2) | instskip(NEXT) | instid1(VALU_DEP_1)
	v_fmac_f32_e32 v117, v119, v114
	v_add_f32_e32 v113, v118, v117
	s_delay_alu instid0(VALU_DEP_1) | instskip(NEXT) | instid1(VALU_DEP_1)
	v_add_f32_e32 v114, v101, v113
	v_dual_sub_f32 v101, v114, v101 :: v_dual_sub_f32 v116, v113, v118
	s_delay_alu instid0(VALU_DEP_1) | instskip(NEXT) | instid1(VALU_DEP_2)
	v_dual_mul_f32 v118, 0x3f317218, v100 :: v_dual_sub_f32 v101, v113, v101
	v_sub_f32_e32 v116, v117, v116
	s_delay_alu instid0(VALU_DEP_2) | instskip(NEXT) | instid1(VALU_DEP_2)
	v_fma_f32 v117, 0x3f317218, v100, -v118
	v_add_f32_e32 v113, v115, v116
	s_delay_alu instid0(VALU_DEP_1) | instskip(NEXT) | instid1(VALU_DEP_1)
	v_dual_fmac_f32 v117, 0xb102e308, v100 :: v_dual_add_f32 v100, v113, v101
	v_add_f32_e32 v101, v118, v117
	s_delay_alu instid0(VALU_DEP_1) | instskip(NEXT) | instid1(VALU_DEP_1)
	v_dual_add_f32 v113, v114, v100 :: v_dual_sub_f32 v118, v101, v118
	v_add_f32_e32 v115, v101, v113
	s_delay_alu instid0(VALU_DEP_1) | instskip(NEXT) | instid1(VALU_DEP_1)
	v_dual_sub_f32 v117, v117, v118 :: v_dual_sub_f32 v116, v115, v101
	v_dual_sub_f32 v114, v113, v114 :: v_dual_sub_f32 v119, v115, v116
	s_delay_alu instid0(VALU_DEP_1) | instskip(NEXT) | instid1(VALU_DEP_2)
	v_dual_sub_f32 v100, v100, v114 :: v_dual_sub_f32 v113, v113, v116
	v_sub_f32_e32 v101, v101, v119
	s_delay_alu instid0(VALU_DEP_2) | instskip(NEXT) | instid1(VALU_DEP_2)
	v_add_f32_e32 v114, v117, v100
	v_add_f32_e32 v101, v113, v101
	s_delay_alu instid0(VALU_DEP_2) | instskip(NEXT) | instid1(VALU_DEP_2)
	v_sub_f32_e32 v113, v114, v117
	v_add_f32_e32 v101, v114, v101
	s_delay_alu instid0(VALU_DEP_2) | instskip(SKIP_1) | instid1(VALU_DEP_2)
	v_sub_f32_e32 v114, v114, v113
	v_sub_f32_e32 v100, v100, v113
	v_dual_add_f32 v116, v115, v101 :: v_dual_sub_f32 v113, v117, v114
	s_delay_alu instid0(VALU_DEP_1) | instskip(NEXT) | instid1(VALU_DEP_2)
	v_sub_f32_e32 v114, v116, v115
	v_add_f32_e32 v100, v100, v113
	v_sub_nc_u32_e32 v115, 0, v99
	s_delay_alu instid0(VALU_DEP_3) | instskip(NEXT) | instid1(VALU_DEP_1)
	v_sub_f32_e32 v101, v101, v114
	v_add_f32_e32 v100, v100, v101
	s_delay_alu instid0(VALU_DEP_1) | instskip(NEXT) | instid1(VALU_DEP_1)
	v_add_f32_e32 v101, v116, v100
	v_dual_sub_f32 v113, v101, v116 :: v_dual_mul_f32 v114, v102, v101
	s_delay_alu instid0(VALU_DEP_1) | instskip(NEXT) | instid1(VALU_DEP_2)
	v_sub_f32_e32 v100, v100, v113
	v_fma_f32 v101, v102, v101, -v114
	v_max_i32_e32 v113, v99, v115
	v_cmp_class_f32_e64 vcc_lo, v114, 0x204
	v_trunc_f32_e32 v99, v102
	s_delay_alu instid0(VALU_DEP_4) | instskip(NEXT) | instid1(VALU_DEP_4)
	v_fmac_f32_e32 v101, v102, v100
	v_cvt_f32_u32_e32 v100, v113
	v_sub_nc_u32_e32 v118, 0, v113
	s_delay_alu instid0(VALU_DEP_4) | instskip(NEXT) | instid1(VALU_DEP_4)
	v_cmp_eq_f32_e64 s40, v99, v102
	v_add_f32_e32 v115, v114, v101
	s_delay_alu instid0(VALU_DEP_4) | instskip(SKIP_1) | instid1(VALU_DEP_1)
	v_rcp_iflag_f32_e32 v100, v100
	s_wait_alu 0xfffd
	v_cndmask_b32_e32 v116, v115, v114, vcc_lo
	s_delay_alu instid0(VALU_DEP_1) | instskip(NEXT) | instid1(TRANS32_DEP_1)
	v_cmp_eq_f32_e32 vcc_lo, 0x42b17218, v116
	v_mul_f32_e32 v100, 0x4f7ffffe, v100
	v_cmp_neq_f32_e64 s41, 0x7f800000, |v116|
	s_wait_alu 0xfffd
	v_cndmask_b32_e64 v117, 0, 0x37000000, vcc_lo
	s_delay_alu instid0(VALU_DEP_3) | instskip(SKIP_1) | instid1(VALU_DEP_3)
	v_cvt_u32_f32_e32 v100, v100
	v_cmp_gt_f32_e32 vcc_lo, 0, v102
	v_sub_f32_e32 v119, v116, v117
	s_delay_alu instid0(VALU_DEP_3) | instskip(NEXT) | instid1(VALU_DEP_2)
	v_mul_lo_u32 v118, v118, v100
	v_mul_f32_e32 v128, 0x3fb8aa3b, v119
	s_delay_alu instid0(VALU_DEP_2) | instskip(NEXT) | instid1(VALU_DEP_2)
	v_mul_hi_u32 v118, v100, v118
	v_fma_f32 v129, 0x3fb8aa3b, v119, -v128
	v_rndne_f32_e32 v130, v128
	s_delay_alu instid0(VALU_DEP_1) | instskip(SKIP_2) | instid1(VALU_DEP_2)
	v_dual_fmac_f32 v129, 0x32a5705f, v119 :: v_dual_sub_f32 v128, v128, v130
	v_sub_f32_e32 v114, v115, v114
	v_cvt_i32_f32_e32 v115, v130
	v_dual_add_f32 v128, v128, v129 :: v_dual_sub_f32 v99, v101, v114
	s_wait_alu 0xf1fe
	s_delay_alu instid0(VALU_DEP_1) | instskip(SKIP_1) | instid1(VALU_DEP_3)
	v_cndmask_b32_e64 v99, 0, v99, s41
	v_add_nc_u32_e32 v100, v100, v118
	v_exp_f32_e32 v118, v128
	v_cmp_ngt_f32_e64 s41, 0xc2ce8ed0, v119
	s_delay_alu instid0(VALU_DEP_3) | instskip(NEXT) | instid1(VALU_DEP_3)
	v_add_f32_e32 v99, v117, v99
	v_mul_hi_u32 v100, v131, v100
	v_mul_f32_e32 v128, 0.5, v102
	s_delay_alu instid0(TRANS32_DEP_1) | instskip(NEXT) | instid1(VALU_DEP_3)
	v_ldexp_f32 v102, v118, v115
	v_mul_lo_u32 v101, v100, v113
	v_add_nc_u32_e32 v115, 1, v100
	s_delay_alu instid0(VALU_DEP_4) | instskip(SKIP_3) | instid1(VALU_DEP_3)
	v_trunc_f32_e32 v114, v128
	s_wait_alu 0xf1ff
	v_cndmask_b32_e64 v102, 0, v102, s41
	v_cmp_nlt_f32_e64 s41, 0x42b17218, v119
	v_cmp_neq_f32_e64 s42, v114, v128
	v_sub_nc_u32_e32 v101, v131, v101
	s_wait_alu 0xf1ff
	s_delay_alu instid0(VALU_DEP_3)
	v_cndmask_b32_e64 v102, 0x7f800000, v102, s41
	v_cmp_eq_f32_e64 s41, 0, v103
	s_and_b32 s42, s40, s42
	v_cmp_ge_u32_e64 s43, v101, v113
	v_fma_f32 v99, v102, v99, v102
	v_cmp_class_f32_e64 s44, v102, 0x204
	v_sub_nc_u32_e32 v114, v101, v113
	s_wait_alu 0xf1ff
	v_cndmask_b32_e64 v100, v100, v115, s43
	s_wait_alu 0xfffe
	v_cndmask_b32_e64 v115, 1.0, v103, s42
	v_cndmask_b32_e64 v99, v99, v102, s44
	v_cndmask_b32_e64 v101, v101, v114, s43
	s_xor_b32 s43, vcc_lo, s41
	s_wait_alu 0xfffe
	v_cndmask_b32_e64 v114, 0x7f800000, 0, s43
	v_bfi_b32 v99, 0x7fffffff, v99, v115
	v_cmp_ge_u32_e32 vcc_lo, v101, v113
	v_cndmask_b32_e64 v115, 0, v103, s42
	s_delay_alu instid0(VALU_DEP_3) | instskip(SKIP_3) | instid1(VALU_DEP_2)
	v_cndmask_b32_e64 v101, 0x7fc00000, v99, s40
	v_add_nc_u32_e32 v102, 1, v100
	v_cmp_class_f32_e64 s40, v103, 0x204
	s_wait_alu 0xfffd
	v_cndmask_b32_e32 v100, v100, v102, vcc_lo
	v_cmp_gt_f32_e32 vcc_lo, 0, v103
	v_bfi_b32 v102, 0x7fffffff, v114, v115
	s_delay_alu instid0(VALU_DEP_3) | instskip(SKIP_3) | instid1(VALU_DEP_2)
	v_xor_b32_e32 v100, v100, v98
	s_wait_alu 0xfffd
	v_cndmask_b32_e32 v99, v99, v101, vcc_lo
	s_or_b32 vcc_lo, s41, s40
	v_sub_nc_u32_e32 v98, v100, v98
	s_wait_alu 0xfffe
	s_delay_alu instid0(VALU_DEP_2) | instskip(SKIP_1) | instid1(VALU_DEP_3)
	v_cndmask_b32_e32 v99, v99, v102, vcc_lo
	v_cmp_o_f32_e32 vcc_lo, v103, v103
	v_cvt_f32_i32_e32 v98, v98
	s_wait_alu 0xfffd
	s_delay_alu instid0(VALU_DEP_3) | instskip(SKIP_2) | instid1(VALU_DEP_2)
	v_cndmask_b32_e32 v99, 0x7fc00000, v99, vcc_lo
	v_cmp_eq_u32_e32 vcc_lo, s77, v9
	s_add_co_i32 s77, s77, 1
	v_mul_f32_e32 v98, v99, v98
	s_or_b32 s76, vcc_lo, s76
	s_wait_loadcnt 0x0
	s_delay_alu instid0(VALU_DEP_1)
	v_fmac_f32_e32 v87, v112, v98
	s_wait_alu 0xfffe
	s_and_not1_b32 exec_lo, exec_lo, s76
	s_cbranch_execz .LBB0_308
.LBB0_293:                              ;   Parent Loop BB0_225 Depth=1
                                        ;     Parent Loop BB0_290 Depth=2
                                        ; =>    This Loop Header: Depth=3
                                        ;         Child Loop BB0_295 Depth 4
                                        ;         Child Loop BB0_299 Depth 4
	;; [unrolled: 1-line block ×3, first 2 shown]
	v_mov_b32_e32 v98, 1
	s_and_saveexec_b32 s40, s16
	s_cbranch_execz .LBB0_297
; %bb.294:                              ;   in Loop: Header=BB0_293 Depth=3
	s_mov_b32 s42, 1
	s_mov_b32 s41, 0
	;; [unrolled: 1-line block ×3, first 2 shown]
.LBB0_295:                              ;   Parent Loop BB0_225 Depth=1
                                        ;     Parent Loop BB0_290 Depth=2
                                        ;       Parent Loop BB0_293 Depth=3
                                        ; =>      This Inner Loop Header: Depth=4
	s_wait_alu 0xfffe
	s_add_co_i32 s42, s42, 1
	s_wait_alu 0xfffe
	v_cmp_eq_u32_e32 vcc_lo, s42, v9
	s_mul_i32 s43, s43, s42
	s_wait_alu 0xfffe
	v_mov_b32_e32 v98, s43
	s_or_b32 s41, vcc_lo, s41
	s_wait_alu 0xfffe
	s_and_not1_b32 exec_lo, exec_lo, s41
	s_cbranch_execnz .LBB0_295
; %bb.296:                              ;   in Loop: Header=BB0_293 Depth=3
	s_or_b32 exec_lo, exec_lo, s41
.LBB0_297:                              ;   in Loop: Header=BB0_293 Depth=3
	s_wait_alu 0xfffe
	s_or_b32 exec_lo, exec_lo, s40
	s_cmp_lt_u32 s77, 2
	s_mov_b32 s40, 1
	s_cbranch_scc1 .LBB0_300
; %bb.298:                              ;   in Loop: Header=BB0_293 Depth=3
	s_mov_b32 s41, 1
.LBB0_299:                              ;   Parent Loop BB0_225 Depth=1
                                        ;     Parent Loop BB0_290 Depth=2
                                        ;       Parent Loop BB0_293 Depth=3
                                        ; =>      This Inner Loop Header: Depth=4
	s_wait_alu 0xfffe
	s_add_co_i32 s41, s41, 1
	s_wait_alu 0xfffe
	s_cmp_lg_u32 s77, s41
	s_mul_i32 s40, s40, s41
	s_cbranch_scc1 .LBB0_299
.LBB0_300:                              ;   in Loop: Header=BB0_293 Depth=3
	v_subrev_nc_u32_e32 v100, s77, v9
	v_mov_b32_e32 v99, 1
	s_mov_b32 s41, exec_lo
	s_delay_alu instid0(VALU_DEP_2)
	v_cmpx_lt_i32_e32 1, v100
	s_cbranch_execz .LBB0_292
; %bb.301:                              ;   in Loop: Header=BB0_293 Depth=3
	s_mov_b32 s43, 1
	s_mov_b32 s42, 0
	;; [unrolled: 1-line block ×3, first 2 shown]
.LBB0_302:                              ;   Parent Loop BB0_225 Depth=1
                                        ;     Parent Loop BB0_290 Depth=2
                                        ;       Parent Loop BB0_293 Depth=3
                                        ; =>      This Inner Loop Header: Depth=4
	s_wait_alu 0xfffe
	s_add_co_i32 s78, s44, 2
	s_add_co_i32 s44, s44, 1
	s_wait_alu 0xfffe
	s_mul_i32 s43, s43, s78
	v_cmp_eq_u32_e32 vcc_lo, s44, v97
	s_wait_alu 0xfffe
	v_mov_b32_e32 v99, s43
	s_or_b32 s42, vcc_lo, s42
	s_wait_alu 0xfffe
	s_and_not1_b32 exec_lo, exec_lo, s42
	s_cbranch_execnz .LBB0_302
; %bb.303:                              ;   in Loop: Header=BB0_293 Depth=3
	s_or_b32 exec_lo, exec_lo, s42
	s_branch .LBB0_292
.LBB0_304:                              ;   in Loop: Header=BB0_290 Depth=2
	s_wait_alu 0xfffe
	s_or_b32 exec_lo, exec_lo, s75
	v_mov_b32_e32 v96, 1
	s_and_saveexec_b32 s40, s18
	s_cbranch_execz .LBB0_309
.LBB0_305:                              ;   in Loop: Header=BB0_290 Depth=2
	s_mov_b32 s42, 1
	s_mov_b32 s41, 0
	;; [unrolled: 1-line block ×3, first 2 shown]
.LBB0_306:                              ;   Parent Loop BB0_225 Depth=1
                                        ;     Parent Loop BB0_290 Depth=2
                                        ; =>    This Inner Loop Header: Depth=3
	s_wait_alu 0xfffe
	s_add_co_i32 s42, s42, 1
	s_wait_alu 0xfffe
	v_cmp_eq_u32_e32 vcc_lo, s42, v16
	s_mul_i32 s43, s43, s42
	s_wait_alu 0xfffe
	v_mov_b32_e32 v96, s43
	s_or_b32 s41, vcc_lo, s41
	s_wait_alu 0xfffe
	s_and_not1_b32 exec_lo, exec_lo, s41
	s_cbranch_execnz .LBB0_306
; %bb.307:                              ;   in Loop: Header=BB0_290 Depth=2
	s_or_b32 exec_lo, exec_lo, s41
	s_delay_alu instid0(SALU_CYCLE_1)
	s_or_b32 exec_lo, exec_lo, s40
	s_cmp_lt_u32 s74, 2
	s_mov_b32 s40, 1
	s_cbranch_scc1 .LBB0_312
	s_branch .LBB0_310
.LBB0_308:                              ;   in Loop: Header=BB0_290 Depth=2
	s_or_b32 exec_lo, exec_lo, s76
	s_delay_alu instid0(SALU_CYCLE_1)
	s_or_b32 exec_lo, exec_lo, s75
	v_mov_b32_e32 v96, 1
	s_and_saveexec_b32 s40, s18
	s_cbranch_execnz .LBB0_305
.LBB0_309:                              ;   in Loop: Header=BB0_290 Depth=2
	s_wait_alu 0xfffe
	s_or_b32 exec_lo, exec_lo, s40
	s_cmp_lt_u32 s74, 2
	s_mov_b32 s40, 1
	s_cbranch_scc1 .LBB0_312
.LBB0_310:                              ;   in Loop: Header=BB0_290 Depth=2
	s_mov_b32 s41, 1
.LBB0_311:                              ;   Parent Loop BB0_225 Depth=1
                                        ;     Parent Loop BB0_290 Depth=2
                                        ; =>    This Inner Loop Header: Depth=3
	s_wait_alu 0xfffe
	s_add_co_i32 s41, s41, 1
	s_wait_alu 0xfffe
	s_cmp_lg_u32 s74, s41
	s_mul_i32 s40, s40, s41
	s_cbranch_scc1 .LBB0_311
.LBB0_312:                              ;   in Loop: Header=BB0_290 Depth=2
	v_subrev_nc_u32_e32 v98, s74, v16
	v_mov_b32_e32 v97, 1
	s_mov_b32 s41, exec_lo
	s_delay_alu instid0(VALU_DEP_2)
	v_cmpx_lt_i32_e32 1, v98
	s_cbranch_execz .LBB0_289
; %bb.313:                              ;   in Loop: Header=BB0_290 Depth=2
	s_mov_b32 s43, 1
	s_mov_b32 s42, 0
	;; [unrolled: 1-line block ×3, first 2 shown]
.LBB0_314:                              ;   Parent Loop BB0_225 Depth=1
                                        ;     Parent Loop BB0_290 Depth=2
                                        ; =>    This Inner Loop Header: Depth=3
	s_wait_alu 0xfffe
	s_add_co_i32 s75, s44, 2
	s_add_co_i32 s44, s44, 1
	s_wait_alu 0xfffe
	s_mul_i32 s43, s43, s75
	v_cmp_eq_u32_e32 vcc_lo, s44, v86
	s_wait_alu 0xfffe
	v_mov_b32_e32 v97, s43
	s_or_b32 s42, vcc_lo, s42
	s_wait_alu 0xfffe
	s_and_not1_b32 exec_lo, exec_lo, s42
	s_cbranch_execnz .LBB0_314
; %bb.315:                              ;   in Loop: Header=BB0_290 Depth=2
	s_or_b32 exec_lo, exec_lo, s42
	s_branch .LBB0_289
.LBB0_316:                              ;   in Loop: Header=BB0_225 Depth=1
	s_or_b32 exec_lo, exec_lo, s73
.LBB0_317:                              ;   in Loop: Header=BB0_225 Depth=1
	s_wait_alu 0xfffe
	s_or_b32 exec_lo, exec_lo, s72
	v_mul_f32_e32 v86, v29, v84
	v_mul_f32_e32 v96, v68, v81
	scratch_store_b32 off, v28, s32 offset:64
	v_cvt_f64_f32_e32 v[86:87], v86
	v_cvt_f64_f32_e32 v[96:97], v96
	s_delay_alu instid0(VALU_DEP_1) | instskip(NEXT) | instid1(VALU_DEP_1)
	v_fma_f64 v[86:87], v[96:97], 2.0, v[86:87]
	v_cvt_f32_f64_e32 v86, v[86:87]
	s_and_saveexec_b32 s40, s20
	s_cbranch_execz .LBB0_319
; %bb.318:                              ;   in Loop: Header=BB0_225 Depth=1
	s_delay_alu instid0(VALU_DEP_1)
	v_mul_f32_e32 v87, v28, v86
	scratch_store_b32 off, v87, s32 offset:92
.LBB0_319:                              ;   in Loop: Header=BB0_225 Depth=1
	s_wait_alu 0xfffe
	s_or_b32 exec_lo, exec_lo, s40
	v_dual_mul_f32 v84, v50, v84 :: v_dual_mul_f32 v87, v32, v81
	s_delay_alu instid0(VALU_DEP_1) | instskip(NEXT) | instid1(VALU_DEP_2)
	v_cvt_f64_f32_e32 v[96:97], v84
	v_cvt_f64_f32_e32 v[98:99], v87
	s_delay_alu instid0(VALU_DEP_1) | instskip(NEXT) | instid1(VALU_DEP_1)
	v_fma_f64 v[96:97], v[98:99], 2.0, v[96:97]
	v_cvt_f32_f64_e32 v84, v[96:97]
	s_and_saveexec_b32 s40, s21
	s_cbranch_execz .LBB0_321
; %bb.320:                              ;   in Loop: Header=BB0_225 Depth=1
	s_delay_alu instid0(VALU_DEP_1)
	v_mul_f32_e32 v87, v28, v84
	scratch_store_b32 off, v87, s32 offset:68
.LBB0_321:                              ;   in Loop: Header=BB0_225 Depth=1
	s_wait_alu 0xfffe
	s_or_b32 exec_lo, exec_lo, s40
	s_and_saveexec_b32 s40, s22
	s_cbranch_execz .LBB0_324
; %bb.322:                              ;   in Loop: Header=BB0_225 Depth=1
	scratch_load_b32 v87, off, s32 offset:92
	s_mov_b32 s41, 1
	s_mov_b32 s42, 0
	;; [unrolled: 1-line block ×3, first 2 shown]
.LBB0_323:                              ;   Parent Loop BB0_225 Depth=1
                                        ; =>  This Inner Loop Header: Depth=2
	scratch_load_b32 v96, off, s43 offset:-56
	s_wait_alu 0xfffe
	s_cvt_f32_i32 s44, s41
	s_add_co_i32 s41, s41, 1
	s_wait_alu 0xfffe
	v_cmp_eq_u32_e32 vcc_lo, s41, v31
	v_mul_f32_e32 v97, s44, v83
	s_wait_loadcnt 0x0
	s_delay_alu instid0(VALU_DEP_1) | instskip(NEXT) | instid1(VALU_DEP_1)
	v_mul_f32_e32 v96, v96, v97
	v_fmac_f32_e32 v96, v87, v86
	s_delay_alu instid0(VALU_DEP_1)
	v_mov_b32_e32 v87, v96
	scratch_store_b32 off, v96, s43
	s_add_co_i32 s43, s43, 28
	s_or_b32 s42, vcc_lo, s42
	s_wait_alu 0xfffe
	s_and_not1_b32 exec_lo, exec_lo, s42
	s_cbranch_execnz .LBB0_323
.LBB0_324:                              ;   in Loop: Header=BB0_225 Depth=1
	s_wait_alu 0xfffe
	s_or_b32 exec_lo, exec_lo, s40
	s_and_saveexec_b32 s40, s23
	s_cbranch_execz .LBB0_327
; %bb.325:                              ;   in Loop: Header=BB0_225 Depth=1
	scratch_load_b32 v83, off, s32 offset:68
	s_mov_b32 s41, 1
	s_mov_b32 s42, 0
	;; [unrolled: 1-line block ×3, first 2 shown]
.LBB0_326:                              ;   Parent Loop BB0_225 Depth=1
                                        ; =>  This Inner Loop Header: Depth=2
	scratch_load_b32 v86, off, s43 offset:-8
	s_wait_alu 0xfffe
	s_cvt_f32_i32 s44, s41
	s_add_co_i32 s41, s41, 1
	s_wait_alu 0xfffe
	v_cmp_eq_u32_e32 vcc_lo, s41, v67
	v_mul_f32_e32 v87, s44, v82
	s_wait_loadcnt 0x0
	s_delay_alu instid0(VALU_DEP_1) | instskip(NEXT) | instid1(VALU_DEP_1)
	v_mul_f32_e32 v86, v86, v87
	v_fmac_f32_e32 v86, v83, v84
	s_delay_alu instid0(VALU_DEP_1)
	v_mov_b32_e32 v83, v86
	scratch_store_b32 off, v86, s43
	s_add_co_i32 s43, s43, 4
	s_or_b32 s42, vcc_lo, s42
	s_wait_alu 0xfffe
	s_and_not1_b32 exec_lo, exec_lo, s42
	s_cbranch_execnz .LBB0_326
.LBB0_327:                              ;   in Loop: Header=BB0_225 Depth=1
	s_wait_alu 0xfffe
	s_or_b32 exec_lo, exec_lo, s40
	s_and_saveexec_b32 s40, s58
	s_cbranch_execz .LBB0_333
; %bb.328:                              ;   in Loop: Header=BB0_225 Depth=1
	s_mov_b32 s43, 1
	s_mov_b32 s41, 0
	;; [unrolled: 1-line block ×3, first 2 shown]
	s_branch .LBB0_330
.LBB0_329:                              ;   in Loop: Header=BB0_330 Depth=2
	s_wait_alu 0xfffe
	s_or_b32 exec_lo, exec_lo, s44
	v_cmp_eq_u32_e32 vcc_lo, s43, v31
	s_add_co_i32 s43, s43, 1
	s_add_co_i32 s42, s42, 28
	s_or_b32 s41, vcc_lo, s41
	s_wait_alu 0xfffe
	s_and_not1_b32 exec_lo, exec_lo, s41
	s_cbranch_execz .LBB0_333
.LBB0_330:                              ;   Parent Loop BB0_225 Depth=1
                                        ; =>  This Loop Header: Depth=2
                                        ;       Child Loop BB0_332 Depth 3
	s_wait_alu 0xfffe
	s_mul_i32 s44, s43, 28
	s_wait_alu 0xfffe
	s_add_co_i32 s72, s32, s44
	s_wait_alu 0xfffe
	s_add_co_i32 s44, s72, 64
	s_cvt_f32_u32 s72, s43
	s_clause 0x1
	scratch_load_b32 v86, off, s44
	scratch_load_b32 v87, off, s44 offset:-28
	s_wait_loadcnt 0x1
	s_wait_alu 0xfffe
	v_dual_mul_f32 v83, s72, v81 :: v_dual_mul_f32 v86, v86, v84
	s_wait_loadcnt 0x0
	s_delay_alu instid0(VALU_DEP_1)
	v_fmac_f32_e32 v86, v87, v83
	scratch_store_b32 off, v86, s44 offset:4
	s_and_saveexec_b32 s44, s23
	s_cbranch_execz .LBB0_329
; %bb.331:                              ;   in Loop: Header=BB0_330 Depth=2
	s_mov_b32 s72, 1
	s_mov_b32 s73, 0
	;; [unrolled: 1-line block ×3, first 2 shown]
.LBB0_332:                              ;   Parent Loop BB0_225 Depth=1
                                        ;     Parent Loop BB0_330 Depth=2
                                        ; =>    This Inner Loop Header: Depth=3
	s_clause 0x1
	scratch_load_b32 v87, off, s74
	scratch_load_b32 v96, off, s74 offset:-24
	s_wait_alu 0xfffe
	s_cvt_f32_i32 s75, s72
	s_add_co_i32 s72, s72, 1
	s_wait_alu 0xfffe
	v_cmp_eq_u32_e32 vcc_lo, s72, v67
	v_mul_f32_e32 v97, s75, v82
	s_wait_loadcnt 0x1
	s_delay_alu instid0(VALU_DEP_1) | instskip(SKIP_1) | instid1(VALU_DEP_1)
	v_mul_f32_e32 v87, v87, v97
	s_wait_loadcnt 0x0
	v_fmac_f32_e32 v87, v83, v96
	s_delay_alu instid0(VALU_DEP_1) | instskip(NEXT) | instid1(VALU_DEP_1)
	v_fmac_f32_e32 v87, v86, v84
	v_mov_b32_e32 v86, v87
	scratch_store_b32 off, v87, s74 offset:8
	s_add_co_i32 s74, s74, 4
	s_or_b32 s73, vcc_lo, s73
	s_wait_alu 0xfffe
	s_and_not1_b32 exec_lo, exec_lo, s73
	s_cbranch_execnz .LBB0_332
	s_branch .LBB0_329
.LBB0_333:                              ;   in Loop: Header=BB0_225 Depth=1
	s_wait_alu 0xfffe
	s_or_b32 exec_lo, exec_lo, s40
	v_mov_b32_e32 v81, 0
	s_and_saveexec_b32 s72, s24
	s_cbranch_execz .LBB0_224
; %bb.334:                              ;   in Loop: Header=BB0_225 Depth=1
	v_dual_mov_b32 v81, 0 :: v_dual_mov_b32 v82, v71
	s_mov_b32 s73, 0
	s_mov_b32 s74, 0
	s_branch .LBB0_336
.LBB0_335:                              ;   in Loop: Header=BB0_336 Depth=2
	s_wait_alu 0xfffe
	s_or_b32 exec_lo, exec_lo, s41
	v_cvt_f32_i32_e32 v87, v87
	v_mul_lo_u32 v86, v86, s40
	v_sub_nc_u32_e32 v117, 0, v84
	v_add_nc_u32_e32 v82, -1, v82
	s_delay_alu instid0(VALU_DEP_4) | instskip(NEXT) | instid1(VALU_DEP_3)
	v_cndmask_b32_e64 v87, v87, 1.0, s29
	v_max_i32_e32 v117, v84, v117
	v_xor_b32_e32 v84, v84, v86
	s_delay_alu instid0(VALU_DEP_3) | instskip(NEXT) | instid1(VALU_DEP_2)
	v_cmp_neq_f32_e32 vcc_lo, 0, v87
	v_ashrrev_i32_e32 v84, 31, v84
	s_wait_alu 0xfffd
	v_cndmask_b32_e32 v98, 1.0, v36, vcc_lo
	s_delay_alu instid0(VALU_DEP_1) | instskip(NEXT) | instid1(VALU_DEP_1)
	v_frexp_mant_f32_e64 v96, |v98|
	v_cmp_gt_f32_e32 vcc_lo, 0x3f2aaaab, v96
	s_wait_alu 0xfffd
	v_cndmask_b32_e64 v97, 1.0, 2.0, vcc_lo
	s_delay_alu instid0(VALU_DEP_1) | instskip(NEXT) | instid1(VALU_DEP_1)
	v_mul_f32_e32 v96, v96, v97
	v_add_f32_e32 v97, 1.0, v96
	v_add_f32_e32 v100, -1.0, v96
	s_delay_alu instid0(VALU_DEP_2) | instskip(NEXT) | instid1(VALU_DEP_1)
	v_add_f32_e32 v102, -1.0, v97
	v_sub_f32_e32 v96, v96, v102
	v_rcp_f32_e32 v99, v97
	s_delay_alu instid0(TRANS32_DEP_1) | instskip(NEXT) | instid1(VALU_DEP_1)
	v_mul_f32_e32 v101, v100, v99
	v_mul_f32_e32 v103, v97, v101
	s_delay_alu instid0(VALU_DEP_1) | instskip(NEXT) | instid1(VALU_DEP_1)
	v_fma_f32 v97, v101, v97, -v103
	v_fmac_f32_e32 v97, v101, v96
	s_delay_alu instid0(VALU_DEP_1) | instskip(NEXT) | instid1(VALU_DEP_1)
	v_add_f32_e32 v96, v103, v97
	v_sub_f32_e32 v103, v96, v103
	s_delay_alu instid0(VALU_DEP_1) | instskip(NEXT) | instid1(VALU_DEP_1)
	v_dual_sub_f32 v102, v100, v96 :: v_dual_sub_f32 v97, v103, v97
	v_sub_f32_e32 v100, v100, v102
	s_delay_alu instid0(VALU_DEP_1) | instskip(NEXT) | instid1(VALU_DEP_1)
	v_sub_f32_e32 v96, v100, v96
	v_add_f32_e32 v96, v97, v96
	s_delay_alu instid0(VALU_DEP_1) | instskip(NEXT) | instid1(VALU_DEP_1)
	v_add_f32_e32 v96, v102, v96
	v_mul_f32_e32 v96, v99, v96
	s_delay_alu instid0(VALU_DEP_1) | instskip(NEXT) | instid1(VALU_DEP_1)
	v_add_f32_e32 v99, v101, v96
	v_sub_f32_e32 v97, v99, v101
	s_delay_alu instid0(VALU_DEP_1) | instskip(NEXT) | instid1(VALU_DEP_1)
	v_dual_mul_f32 v100, v99, v99 :: v_dual_sub_f32 v101, v96, v97
	v_fma_f32 v102, v99, v99, -v100
	s_delay_alu instid0(VALU_DEP_2) | instskip(NEXT) | instid1(VALU_DEP_1)
	v_add_f32_e32 v96, v101, v101
	v_fmac_f32_e32 v102, v99, v96
	v_cvt_f64_f32_e64 v[96:97], |v98|
	s_delay_alu instid0(VALU_DEP_2) | instskip(NEXT) | instid1(VALU_DEP_1)
	v_add_f32_e32 v103, v100, v102
	v_fmaak_f32 v112, s61, v103, 0x3e91f4c4
	v_sub_f32_e32 v100, v103, v100
	v_mul_f32_e32 v115, v99, v103
	s_delay_alu instid0(VALU_DEP_3) | instskip(NEXT) | instid1(VALU_DEP_3)
	v_fmaak_f32 v112, v103, v112, 0x3ecccdef
	v_sub_f32_e32 v100, v102, v100
	s_delay_alu instid0(VALU_DEP_2) | instskip(NEXT) | instid1(VALU_DEP_1)
	v_mul_f32_e32 v113, v103, v112
	v_fma_f32 v102, v103, v112, -v113
	s_delay_alu instid0(VALU_DEP_1) | instskip(NEXT) | instid1(VALU_DEP_1)
	v_fmac_f32_e32 v102, v100, v112
	v_add_f32_e32 v112, v113, v102
	v_frexp_exp_i32_f64_e32 v96, v[96:97]
	s_delay_alu instid0(VALU_DEP_2) | instskip(NEXT) | instid1(VALU_DEP_1)
	v_sub_f32_e32 v113, v112, v113
	v_sub_f32_e32 v97, v102, v113
	v_fma_f32 v113, v103, v99, -v115
	s_delay_alu instid0(VALU_DEP_2) | instskip(NEXT) | instid1(VALU_DEP_2)
	v_add_f32_e32 v97, 0x31739010, v97
	v_fmac_f32_e32 v113, v103, v101
	v_ldexp_f32 v101, v101, 1
	s_delay_alu instid0(VALU_DEP_2) | instskip(NEXT) | instid1(VALU_DEP_1)
	v_dual_fmac_f32 v113, v100, v99 :: v_dual_add_f32 v114, 0x3f2aaaaa, v112
	v_add_f32_e32 v102, 0xbf2aaaaa, v114
	s_delay_alu instid0(VALU_DEP_1) | instskip(NEXT) | instid1(VALU_DEP_1)
	v_sub_f32_e32 v102, v112, v102
	v_add_f32_e32 v97, v97, v102
	s_delay_alu instid0(VALU_DEP_1) | instskip(SKIP_1) | instid1(VALU_DEP_2)
	v_add_f32_e32 v100, v114, v97
	v_subrev_co_ci_u32_e64 v96, null, 0, v96, vcc_lo
	v_sub_f32_e32 v103, v114, v100
	s_delay_alu instid0(VALU_DEP_2) | instskip(NEXT) | instid1(VALU_DEP_2)
	v_cvt_f32_i32_e32 v96, v96
	v_dual_add_f32 v102, v115, v113 :: v_dual_add_f32 v97, v97, v103
	s_delay_alu instid0(VALU_DEP_1) | instskip(SKIP_1) | instid1(VALU_DEP_2)
	v_mul_f32_e32 v112, v102, v100
	v_sub_f32_e32 v114, v102, v115
	v_fma_f32 v103, v102, v100, -v112
	s_delay_alu instid0(VALU_DEP_2) | instskip(NEXT) | instid1(VALU_DEP_2)
	v_sub_f32_e32 v113, v113, v114
	v_fmac_f32_e32 v103, v102, v97
	v_ldexp_f32 v97, v99, 1
	s_delay_alu instid0(VALU_DEP_2) | instskip(NEXT) | instid1(VALU_DEP_1)
	v_fmac_f32_e32 v103, v113, v100
	v_add_f32_e32 v99, v112, v103
	s_delay_alu instid0(VALU_DEP_1) | instskip(NEXT) | instid1(VALU_DEP_1)
	v_add_f32_e32 v100, v97, v99
	v_dual_sub_f32 v97, v100, v97 :: v_dual_sub_f32 v102, v99, v112
	s_delay_alu instid0(VALU_DEP_1) | instskip(NEXT) | instid1(VALU_DEP_2)
	v_dual_mul_f32 v112, 0x3f317218, v96 :: v_dual_sub_f32 v97, v99, v97
	v_sub_f32_e32 v102, v103, v102
	s_delay_alu instid0(VALU_DEP_2) | instskip(NEXT) | instid1(VALU_DEP_2)
	v_fma_f32 v103, 0x3f317218, v96, -v112
	v_add_f32_e32 v99, v101, v102
	s_delay_alu instid0(VALU_DEP_1) | instskip(NEXT) | instid1(VALU_DEP_1)
	v_dual_fmac_f32 v103, 0xb102e308, v96 :: v_dual_add_f32 v96, v99, v97
	v_add_f32_e32 v97, v112, v103
	s_delay_alu instid0(VALU_DEP_1) | instskip(NEXT) | instid1(VALU_DEP_1)
	v_sub_f32_e32 v112, v97, v112
	v_sub_f32_e32 v103, v103, v112
	s_delay_alu instid0(VALU_DEP_4) | instskip(NEXT) | instid1(VALU_DEP_1)
	v_add_f32_e32 v99, v100, v96
	v_add_f32_e32 v101, v97, v99
	s_delay_alu instid0(VALU_DEP_1) | instskip(NEXT) | instid1(VALU_DEP_1)
	v_sub_f32_e32 v102, v101, v97
	v_dual_sub_f32 v113, v101, v102 :: v_dual_sub_f32 v100, v99, v100
	v_sub_f32_e32 v99, v99, v102
	s_delay_alu instid0(VALU_DEP_2) | instskip(NEXT) | instid1(VALU_DEP_1)
	v_dual_sub_f32 v97, v97, v113 :: v_dual_sub_f32 v96, v96, v100
	v_add_f32_e32 v97, v99, v97
	s_delay_alu instid0(VALU_DEP_2) | instskip(NEXT) | instid1(VALU_DEP_1)
	v_add_f32_e32 v100, v103, v96
	v_sub_f32_e32 v99, v100, v103
	s_delay_alu instid0(VALU_DEP_3) | instskip(NEXT) | instid1(VALU_DEP_2)
	v_add_f32_e32 v97, v100, v97
	v_sub_f32_e32 v96, v96, v99
	s_delay_alu instid0(VALU_DEP_2) | instskip(SKIP_1) | instid1(VALU_DEP_1)
	v_add_f32_e32 v102, v101, v97
	v_sub_f32_e32 v100, v100, v99
	v_dual_sub_f32 v99, v103, v100 :: v_dual_sub_f32 v100, v102, v101
	v_sub_nc_u32_e32 v101, 0, v86
	s_delay_alu instid0(VALU_DEP_2) | instskip(NEXT) | instid1(VALU_DEP_1)
	v_dual_sub_f32 v97, v97, v100 :: v_dual_add_f32 v96, v96, v99
	v_add_f32_e32 v96, v96, v97
	s_delay_alu instid0(VALU_DEP_1) | instskip(NEXT) | instid1(VALU_DEP_1)
	v_add_f32_e32 v97, v102, v96
	v_dual_sub_f32 v99, v97, v102 :: v_dual_mul_f32 v100, v87, v97
	s_delay_alu instid0(VALU_DEP_1) | instskip(NEXT) | instid1(VALU_DEP_2)
	v_sub_f32_e32 v96, v96, v99
	v_fma_f32 v97, v87, v97, -v100
	v_max_i32_e32 v99, v86, v101
	v_cmp_class_f32_e64 vcc_lo, v100, 0x204
	v_trunc_f32_e32 v86, v87
	s_delay_alu instid0(VALU_DEP_4) | instskip(NEXT) | instid1(VALU_DEP_4)
	v_fmac_f32_e32 v97, v87, v96
	v_cvt_f32_u32_e32 v96, v99
	v_sub_nc_u32_e32 v112, 0, v99
	s_delay_alu instid0(VALU_DEP_4) | instskip(NEXT) | instid1(VALU_DEP_3)
	v_cmp_eq_f32_e64 s40, v86, v87
	v_rcp_iflag_f32_e32 v96, v96
	s_delay_alu instid0(TRANS32_DEP_1) | instskip(SKIP_1) | instid1(VALU_DEP_1)
	v_dual_add_f32 v101, v100, v97 :: v_dual_mul_f32 v96, 0x4f7ffffe, v96
	s_wait_alu 0xfffd
	v_cndmask_b32_e32 v102, v101, v100, vcc_lo
	v_sub_f32_e32 v100, v101, v100
	s_delay_alu instid0(VALU_DEP_3) | instskip(NEXT) | instid1(VALU_DEP_3)
	v_cvt_u32_f32_e32 v96, v96
	v_cmp_eq_f32_e32 vcc_lo, 0x42b17218, v102
	s_delay_alu instid0(VALU_DEP_3) | instskip(SKIP_1) | instid1(VALU_DEP_4)
	v_sub_f32_e32 v86, v97, v100
	v_cmp_neq_f32_e64 s41, 0x7f800000, |v102|
	v_mul_lo_u32 v112, v112, v96
	s_wait_alu 0xfffd
	v_cndmask_b32_e64 v103, 0, 0x37000000, vcc_lo
	v_cmp_gt_f32_e32 vcc_lo, 0, v87
	s_wait_alu 0xf1ff
	v_cndmask_b32_e64 v86, 0, v86, s41
	s_delay_alu instid0(VALU_DEP_3) | instskip(SKIP_1) | instid1(VALU_DEP_3)
	v_sub_f32_e32 v113, v102, v103
	v_mul_hi_u32 v112, v96, v112
	v_add_f32_e32 v86, v103, v86
	s_delay_alu instid0(VALU_DEP_3) | instskip(SKIP_1) | instid1(VALU_DEP_2)
	v_mul_f32_e32 v114, 0x3fb8aa3b, v113
	v_cmp_ngt_f32_e64 s41, 0xc2ce8ed0, v113
	v_fma_f32 v115, 0x3fb8aa3b, v113, -v114
	v_rndne_f32_e32 v116, v114
	s_delay_alu instid0(VALU_DEP_2) | instskip(NEXT) | instid1(VALU_DEP_2)
	v_dual_fmac_f32 v115, 0x32a5705f, v113 :: v_dual_add_nc_u32 v96, v96, v112
	v_sub_f32_e32 v114, v114, v116
	s_delay_alu instid0(VALU_DEP_2) | instskip(SKIP_1) | instid1(VALU_DEP_3)
	v_mul_hi_u32 v96, v117, v96
	v_cvt_i32_f32_e32 v101, v116
	v_add_f32_e32 v114, v114, v115
	s_delay_alu instid0(VALU_DEP_1) | instskip(SKIP_1) | instid1(VALU_DEP_4)
	v_exp_f32_e32 v112, v114
	v_mul_f32_e32 v114, 0.5, v87
	v_mul_lo_u32 v87, v96, v99
	s_delay_alu instid0(VALU_DEP_2) | instskip(NEXT) | instid1(TRANS32_DEP_1)
	v_trunc_f32_e32 v100, v114
	v_ldexp_f32 v97, v112, v101
	s_delay_alu instid0(VALU_DEP_3) | instskip(NEXT) | instid1(VALU_DEP_3)
	v_sub_nc_u32_e32 v87, v117, v87
	v_cmp_neq_f32_e64 s42, v100, v114
	v_add_nc_u32_e32 v101, 1, v96
	s_wait_alu 0xf1ff
	v_cndmask_b32_e64 v97, 0, v97, s41
	v_cmp_nlt_f32_e64 s41, 0x42b17218, v113
	v_cmp_ge_u32_e64 s43, v87, v99
	v_sub_nc_u32_e32 v100, v87, v99
	s_and_b32 s42, s40, s42
	v_cndmask_b32_e64 v97, 0x7f800000, v97, s41
	v_cmp_eq_f32_e64 s41, 0, v98
	v_cndmask_b32_e64 v96, v96, v101, s43
	s_wait_alu 0xfffe
	v_cndmask_b32_e64 v101, 1.0, v98, s42
	v_cndmask_b32_e64 v87, v87, v100, s43
	v_fma_f32 v86, v97, v86, v97
	v_cmp_class_f32_e64 s44, v97, 0x204
	s_xor_b32 s43, vcc_lo, s41
	v_cmp_ge_u32_e32 vcc_lo, v87, v99
	s_wait_alu 0xfffe
	v_cndmask_b32_e64 v100, 0x7f800000, 0, s43
	v_cndmask_b32_e64 v86, v86, v97, s44
	v_add_nc_u32_e32 v97, 1, v96
	s_delay_alu instid0(VALU_DEP_2) | instskip(SKIP_2) | instid1(VALU_DEP_3)
	v_bfi_b32 v86, 0x7fffffff, v86, v101
	v_cndmask_b32_e64 v101, 0, v98, s42
	s_wait_alu 0xfffd
	v_cndmask_b32_e32 v87, v96, v97, vcc_lo
	v_cmp_gt_f32_e32 vcc_lo, 0, v98
	v_cndmask_b32_e64 v96, 0x7fc00000, v86, s40
	v_cmp_class_f32_e64 s40, v98, 0x204
	v_bfi_b32 v97, 0x7fffffff, v100, v101
	v_xor_b32_e32 v87, v87, v84
	s_wait_alu 0xfffd
	v_cndmask_b32_e32 v86, v86, v96, vcc_lo
	s_or_b32 vcc_lo, s41, s40
	s_delay_alu instid0(VALU_DEP_2) | instskip(SKIP_1) | instid1(VALU_DEP_2)
	v_sub_nc_u32_e32 v84, v87, v84
	s_wait_alu 0xfffe
	v_cndmask_b32_e32 v86, v86, v97, vcc_lo
	v_cmp_o_f32_e32 vcc_lo, v98, v98
	s_delay_alu instid0(VALU_DEP_3) | instskip(SKIP_1) | instid1(VALU_DEP_3)
	v_cvt_f32_i32_e32 v84, v84
	s_wait_alu 0xfffd
	v_cndmask_b32_e32 v86, 0x7fc00000, v86, vcc_lo
	v_cmp_eq_u32_e32 vcc_lo, s74, v17
	s_add_co_i32 s74, s74, 1
	s_delay_alu instid0(VALU_DEP_2) | instskip(SKIP_1) | instid1(VALU_DEP_1)
	v_mul_f32_e32 v84, v86, v84
	s_or_b32 s73, vcc_lo, s73
	v_fmac_f32_e32 v81, v83, v84
	s_wait_alu 0xfffe
	s_and_not1_b32 exec_lo, exec_lo, s73
	s_cbranch_execz .LBB0_223
.LBB0_336:                              ;   Parent Loop BB0_225 Depth=1
                                        ; =>  This Loop Header: Depth=2
                                        ;       Child Loop BB0_339 Depth 3
                                        ;         Child Loop BB0_341 Depth 4
                                        ;         Child Loop BB0_345 Depth 4
                                        ;         Child Loop BB0_348 Depth 4
                                        ;       Child Loop BB0_352 Depth 3
                                        ;       Child Loop BB0_357 Depth 3
	;; [unrolled: 1-line block ×3, first 2 shown]
	v_mov_b32_e32 v83, 0
	s_and_saveexec_b32 s75, s25
	s_cbranch_execz .LBB0_350
; %bb.337:                              ;   in Loop: Header=BB0_336 Depth=2
	s_wait_alu 0xfffe
	v_lshl_add_u32 v84, s74, 2, v25
	v_dual_mov_b32 v83, 0 :: v_dual_mov_b32 v86, v70
	s_mov_b32 s76, 0
	s_mov_b32 s77, 0
	s_branch .LBB0_339
.LBB0_338:                              ;   in Loop: Header=BB0_339 Depth=3
	s_wait_alu 0xfffe
	s_or_b32 exec_lo, exec_lo, s41
	v_cvt_f32_i32_e32 v97, v97
	s_mul_i32 s41, s77, 28
	v_mul_lo_u32 v96, v96, s40
	v_sub_nc_u32_e32 v128, 0, v87
	v_add_nc_u32_e32 v86, -1, v86
	v_cndmask_b32_e64 v99, v97, 1.0, s27
	s_delay_alu instid0(VALU_DEP_3) | instskip(NEXT) | instid1(VALU_DEP_2)
	v_max_i32_e32 v128, v87, v128
	v_cmp_neq_f32_e32 vcc_lo, 0, v99
	v_xor_b32_e32 v87, v87, v96
	s_wait_alu 0xfffd
	v_cndmask_b32_e32 v100, 1.0, v37, vcc_lo
	s_delay_alu instid0(VALU_DEP_2) | instskip(NEXT) | instid1(VALU_DEP_2)
	v_ashrrev_i32_e32 v87, 31, v87
	v_frexp_mant_f32_e64 v97, |v100|
	s_delay_alu instid0(VALU_DEP_1) | instskip(SKIP_2) | instid1(VALU_DEP_1)
	v_cmp_gt_f32_e32 vcc_lo, 0x3f2aaaab, v97
	s_wait_alu 0xfffd
	v_cndmask_b32_e64 v98, 1.0, 2.0, vcc_lo
	v_mul_f32_e32 v97, v97, v98
	s_delay_alu instid0(VALU_DEP_1) | instskip(SKIP_1) | instid1(VALU_DEP_2)
	v_add_f32_e32 v98, 1.0, v97
	v_add_f32_e32 v102, -1.0, v97
	v_add_f32_e32 v112, -1.0, v98
	s_delay_alu instid0(VALU_DEP_1) | instskip(SKIP_1) | instid1(TRANS32_DEP_1)
	v_sub_f32_e32 v97, v97, v112
	v_rcp_f32_e32 v101, v98
	v_mul_f32_e32 v103, v102, v101
	s_delay_alu instid0(VALU_DEP_1) | instskip(NEXT) | instid1(VALU_DEP_1)
	v_mul_f32_e32 v113, v98, v103
	v_fma_f32 v98, v103, v98, -v113
	s_delay_alu instid0(VALU_DEP_1) | instskip(NEXT) | instid1(VALU_DEP_1)
	v_fmac_f32_e32 v98, v103, v97
	v_add_f32_e32 v97, v113, v98
	s_delay_alu instid0(VALU_DEP_1) | instskip(NEXT) | instid1(VALU_DEP_1)
	v_sub_f32_e32 v112, v102, v97
	v_dual_sub_f32 v102, v102, v112 :: v_dual_sub_f32 v113, v97, v113
	s_delay_alu instid0(VALU_DEP_1) | instskip(NEXT) | instid1(VALU_DEP_1)
	v_dual_sub_f32 v97, v102, v97 :: v_dual_sub_f32 v98, v113, v98
	v_add_f32_e32 v97, v98, v97
	s_delay_alu instid0(VALU_DEP_1) | instskip(NEXT) | instid1(VALU_DEP_1)
	v_add_f32_e32 v97, v112, v97
	v_mul_f32_e32 v97, v101, v97
	scratch_load_b32 v101, v84, s41
	v_add_f32_e32 v102, v103, v97
	s_delay_alu instid0(VALU_DEP_1) | instskip(NEXT) | instid1(VALU_DEP_1)
	v_sub_f32_e32 v98, v102, v103
	v_sub_f32_e32 v112, v97, v98
	s_delay_alu instid0(VALU_DEP_1) | instskip(SKIP_1) | instid1(VALU_DEP_1)
	v_add_f32_e32 v97, v112, v112
	v_mul_f32_e32 v103, v102, v102
	v_fma_f32 v113, v102, v102, -v103
	s_delay_alu instid0(VALU_DEP_1) | instskip(SKIP_1) | instid1(VALU_DEP_2)
	v_fmac_f32_e32 v113, v102, v97
	v_cvt_f64_f32_e64 v[97:98], |v100|
	v_add_f32_e32 v114, v103, v113
	s_delay_alu instid0(VALU_DEP_1) | instskip(NEXT) | instid1(VALU_DEP_1)
	v_sub_f32_e32 v103, v114, v103
	v_sub_f32_e32 v103, v113, v103
	v_fmaak_f32 v115, s61, v114, 0x3e91f4c4
	v_mul_f32_e32 v118, v102, v114
	s_delay_alu instid0(VALU_DEP_2) | instskip(NEXT) | instid1(VALU_DEP_1)
	v_fmaak_f32 v115, v114, v115, 0x3ecccdef
	v_mul_f32_e32 v116, v114, v115
	s_delay_alu instid0(VALU_DEP_1) | instskip(NEXT) | instid1(VALU_DEP_1)
	v_fma_f32 v113, v114, v115, -v116
	v_fmac_f32_e32 v113, v103, v115
	v_frexp_exp_i32_f64_e32 v97, v[97:98]
	s_delay_alu instid0(VALU_DEP_2) | instskip(NEXT) | instid1(VALU_DEP_1)
	v_add_f32_e32 v115, v116, v113
	v_sub_f32_e32 v116, v115, v116
	s_delay_alu instid0(VALU_DEP_1) | instskip(SKIP_1) | instid1(VALU_DEP_2)
	v_sub_f32_e32 v98, v113, v116
	v_fma_f32 v116, v114, v102, -v118
	v_add_f32_e32 v98, 0x31739010, v98
	s_delay_alu instid0(VALU_DEP_2) | instskip(SKIP_1) | instid1(VALU_DEP_2)
	v_dual_fmac_f32 v116, v114, v112 :: v_dual_add_f32 v117, 0x3f2aaaaa, v115
	v_ldexp_f32 v112, v112, 1
	v_dual_fmac_f32 v116, v103, v102 :: v_dual_add_f32 v113, 0xbf2aaaaa, v117
	s_delay_alu instid0(VALU_DEP_1) | instskip(NEXT) | instid1(VALU_DEP_1)
	v_sub_f32_e32 v113, v115, v113
	v_add_f32_e32 v98, v98, v113
	v_subrev_co_ci_u32_e64 v97, null, 0, v97, vcc_lo
	s_delay_alu instid0(VALU_DEP_2) | instskip(SKIP_1) | instid1(VALU_DEP_3)
	v_add_f32_e32 v103, v117, v98
	v_add_f32_e32 v113, v118, v116
	v_cvt_f32_i32_e32 v97, v97
	s_delay_alu instid0(VALU_DEP_3) | instskip(NEXT) | instid1(VALU_DEP_3)
	v_sub_f32_e32 v114, v117, v103
	v_sub_f32_e32 v117, v113, v118
	s_delay_alu instid0(VALU_DEP_2) | instskip(NEXT) | instid1(VALU_DEP_2)
	v_add_f32_e32 v98, v98, v114
	v_dual_sub_f32 v116, v116, v117 :: v_dual_mul_f32 v115, v113, v103
	s_delay_alu instid0(VALU_DEP_1) | instskip(NEXT) | instid1(VALU_DEP_1)
	v_fma_f32 v114, v113, v103, -v115
	v_fmac_f32_e32 v114, v113, v98
	v_ldexp_f32 v98, v102, 1
	s_delay_alu instid0(VALU_DEP_2) | instskip(NEXT) | instid1(VALU_DEP_1)
	v_fmac_f32_e32 v114, v116, v103
	v_add_f32_e32 v102, v115, v114
	s_delay_alu instid0(VALU_DEP_1) | instskip(NEXT) | instid1(VALU_DEP_1)
	v_add_f32_e32 v103, v98, v102
	v_dual_sub_f32 v98, v103, v98 :: v_dual_sub_f32 v113, v102, v115
	s_delay_alu instid0(VALU_DEP_1) | instskip(NEXT) | instid1(VALU_DEP_2)
	v_dual_mul_f32 v115, 0x3f317218, v97 :: v_dual_sub_f32 v98, v102, v98
	v_sub_f32_e32 v113, v114, v113
	s_delay_alu instid0(VALU_DEP_2) | instskip(NEXT) | instid1(VALU_DEP_2)
	v_fma_f32 v114, 0x3f317218, v97, -v115
	v_add_f32_e32 v102, v112, v113
	s_delay_alu instid0(VALU_DEP_1) | instskip(NEXT) | instid1(VALU_DEP_1)
	v_dual_fmac_f32 v114, 0xb102e308, v97 :: v_dual_add_f32 v97, v102, v98
	v_add_f32_e32 v98, v115, v114
	s_delay_alu instid0(VALU_DEP_1) | instskip(NEXT) | instid1(VALU_DEP_1)
	v_dual_add_f32 v102, v103, v97 :: v_dual_sub_f32 v115, v98, v115
	v_add_f32_e32 v112, v98, v102
	s_delay_alu instid0(VALU_DEP_1) | instskip(NEXT) | instid1(VALU_DEP_1)
	v_dual_sub_f32 v114, v114, v115 :: v_dual_sub_f32 v113, v112, v98
	v_dual_sub_f32 v103, v102, v103 :: v_dual_sub_f32 v116, v112, v113
	s_delay_alu instid0(VALU_DEP_1) | instskip(NEXT) | instid1(VALU_DEP_2)
	v_dual_sub_f32 v97, v97, v103 :: v_dual_sub_f32 v102, v102, v113
	v_sub_f32_e32 v98, v98, v116
	s_delay_alu instid0(VALU_DEP_2) | instskip(NEXT) | instid1(VALU_DEP_2)
	v_add_f32_e32 v103, v114, v97
	v_add_f32_e32 v98, v102, v98
	s_delay_alu instid0(VALU_DEP_2) | instskip(NEXT) | instid1(VALU_DEP_2)
	v_sub_f32_e32 v102, v103, v114
	v_add_f32_e32 v98, v103, v98
	s_delay_alu instid0(VALU_DEP_2) | instskip(SKIP_1) | instid1(VALU_DEP_2)
	v_sub_f32_e32 v103, v103, v102
	v_sub_f32_e32 v97, v97, v102
	v_dual_add_f32 v113, v112, v98 :: v_dual_sub_f32 v102, v114, v103
	s_delay_alu instid0(VALU_DEP_1) | instskip(NEXT) | instid1(VALU_DEP_2)
	v_sub_f32_e32 v103, v113, v112
	v_add_f32_e32 v97, v97, v102
	v_sub_nc_u32_e32 v112, 0, v96
	s_delay_alu instid0(VALU_DEP_3) | instskip(NEXT) | instid1(VALU_DEP_1)
	v_sub_f32_e32 v98, v98, v103
	v_add_f32_e32 v97, v97, v98
	s_delay_alu instid0(VALU_DEP_1) | instskip(NEXT) | instid1(VALU_DEP_1)
	v_add_f32_e32 v98, v113, v97
	v_dual_sub_f32 v102, v98, v113 :: v_dual_mul_f32 v103, v99, v98
	s_delay_alu instid0(VALU_DEP_1) | instskip(NEXT) | instid1(VALU_DEP_2)
	v_sub_f32_e32 v97, v97, v102
	v_fma_f32 v98, v99, v98, -v103
	v_max_i32_e32 v102, v96, v112
	v_cmp_class_f32_e64 vcc_lo, v103, 0x204
	v_trunc_f32_e32 v96, v99
	s_delay_alu instid0(VALU_DEP_4) | instskip(NEXT) | instid1(VALU_DEP_4)
	v_fmac_f32_e32 v98, v99, v97
	v_cvt_f32_u32_e32 v97, v102
	v_sub_nc_u32_e32 v115, 0, v102
	s_delay_alu instid0(VALU_DEP_4) | instskip(NEXT) | instid1(VALU_DEP_4)
	v_cmp_eq_f32_e64 s40, v96, v99
	v_add_f32_e32 v112, v103, v98
	s_delay_alu instid0(VALU_DEP_4) | instskip(SKIP_1) | instid1(VALU_DEP_1)
	v_rcp_iflag_f32_e32 v97, v97
	s_wait_alu 0xfffd
	v_cndmask_b32_e32 v113, v112, v103, vcc_lo
	s_delay_alu instid0(VALU_DEP_1) | instskip(NEXT) | instid1(TRANS32_DEP_1)
	v_cmp_eq_f32_e32 vcc_lo, 0x42b17218, v113
	v_mul_f32_e32 v97, 0x4f7ffffe, v97
	v_cmp_neq_f32_e64 s41, 0x7f800000, |v113|
	s_wait_alu 0xfffd
	v_cndmask_b32_e64 v114, 0, 0x37000000, vcc_lo
	s_delay_alu instid0(VALU_DEP_3) | instskip(SKIP_1) | instid1(VALU_DEP_3)
	v_cvt_u32_f32_e32 v97, v97
	v_cmp_gt_f32_e32 vcc_lo, 0, v99
	v_sub_f32_e32 v116, v113, v114
	s_delay_alu instid0(VALU_DEP_3) | instskip(NEXT) | instid1(VALU_DEP_2)
	v_mul_lo_u32 v115, v115, v97
	v_mul_f32_e32 v117, 0x3fb8aa3b, v116
	s_delay_alu instid0(VALU_DEP_2) | instskip(NEXT) | instid1(VALU_DEP_2)
	v_mul_hi_u32 v115, v97, v115
	v_fma_f32 v118, 0x3fb8aa3b, v116, -v117
	v_rndne_f32_e32 v119, v117
	s_delay_alu instid0(VALU_DEP_1) | instskip(SKIP_2) | instid1(VALU_DEP_2)
	v_dual_fmac_f32 v118, 0x32a5705f, v116 :: v_dual_sub_f32 v117, v117, v119
	v_sub_f32_e32 v103, v112, v103
	v_cvt_i32_f32_e32 v112, v119
	v_dual_add_f32 v117, v117, v118 :: v_dual_sub_f32 v96, v98, v103
	s_wait_alu 0xf1fe
	s_delay_alu instid0(VALU_DEP_1) | instskip(SKIP_1) | instid1(VALU_DEP_3)
	v_cndmask_b32_e64 v96, 0, v96, s41
	v_add_nc_u32_e32 v97, v97, v115
	v_exp_f32_e32 v115, v117
	v_cmp_ngt_f32_e64 s41, 0xc2ce8ed0, v116
	s_delay_alu instid0(VALU_DEP_3) | instskip(NEXT) | instid1(VALU_DEP_3)
	v_add_f32_e32 v96, v114, v96
	v_mul_hi_u32 v97, v128, v97
	v_mul_f32_e32 v117, 0.5, v99
	s_delay_alu instid0(TRANS32_DEP_1) | instskip(NEXT) | instid1(VALU_DEP_3)
	v_ldexp_f32 v99, v115, v112
	v_mul_lo_u32 v98, v97, v102
	v_add_nc_u32_e32 v112, 1, v97
	s_delay_alu instid0(VALU_DEP_4) | instskip(SKIP_3) | instid1(VALU_DEP_3)
	v_trunc_f32_e32 v103, v117
	s_wait_alu 0xf1ff
	v_cndmask_b32_e64 v99, 0, v99, s41
	v_cmp_nlt_f32_e64 s41, 0x42b17218, v116
	v_cmp_neq_f32_e64 s42, v103, v117
	v_sub_nc_u32_e32 v98, v128, v98
	s_wait_alu 0xf1ff
	s_delay_alu instid0(VALU_DEP_3)
	v_cndmask_b32_e64 v99, 0x7f800000, v99, s41
	v_cmp_eq_f32_e64 s41, 0, v100
	s_and_b32 s42, s40, s42
	v_cmp_ge_u32_e64 s43, v98, v102
	v_fma_f32 v96, v99, v96, v99
	v_cmp_class_f32_e64 s44, v99, 0x204
	v_sub_nc_u32_e32 v103, v98, v102
	s_wait_alu 0xf1ff
	v_cndmask_b32_e64 v97, v97, v112, s43
	s_wait_alu 0xfffe
	v_cndmask_b32_e64 v112, 1.0, v100, s42
	v_cndmask_b32_e64 v96, v96, v99, s44
	v_cndmask_b32_e64 v98, v98, v103, s43
	s_xor_b32 s43, vcc_lo, s41
	s_wait_alu 0xfffe
	v_cndmask_b32_e64 v103, 0x7f800000, 0, s43
	v_bfi_b32 v96, 0x7fffffff, v96, v112
	v_cmp_ge_u32_e32 vcc_lo, v98, v102
	v_cndmask_b32_e64 v112, 0, v100, s42
	s_delay_alu instid0(VALU_DEP_3) | instskip(SKIP_3) | instid1(VALU_DEP_2)
	v_cndmask_b32_e64 v98, 0x7fc00000, v96, s40
	v_add_nc_u32_e32 v99, 1, v97
	v_cmp_class_f32_e64 s40, v100, 0x204
	s_wait_alu 0xfffd
	v_cndmask_b32_e32 v97, v97, v99, vcc_lo
	v_cmp_gt_f32_e32 vcc_lo, 0, v100
	v_bfi_b32 v99, 0x7fffffff, v103, v112
	s_delay_alu instid0(VALU_DEP_3) | instskip(SKIP_3) | instid1(VALU_DEP_2)
	v_xor_b32_e32 v97, v97, v87
	s_wait_alu 0xfffd
	v_cndmask_b32_e32 v96, v96, v98, vcc_lo
	s_or_b32 vcc_lo, s41, s40
	v_sub_nc_u32_e32 v87, v97, v87
	s_wait_alu 0xfffe
	s_delay_alu instid0(VALU_DEP_2) | instskip(SKIP_1) | instid1(VALU_DEP_3)
	v_cndmask_b32_e32 v96, v96, v99, vcc_lo
	v_cmp_o_f32_e32 vcc_lo, v100, v100
	v_cvt_f32_i32_e32 v87, v87
	s_wait_alu 0xfffd
	s_delay_alu instid0(VALU_DEP_3) | instskip(SKIP_2) | instid1(VALU_DEP_2)
	v_cndmask_b32_e32 v96, 0x7fc00000, v96, vcc_lo
	v_cmp_eq_u32_e32 vcc_lo, s77, v12
	s_add_co_i32 s77, s77, 1
	v_mul_f32_e32 v87, v96, v87
	s_or_b32 s76, vcc_lo, s76
	s_wait_loadcnt 0x0
	s_delay_alu instid0(VALU_DEP_1)
	v_fmac_f32_e32 v83, v101, v87
	s_wait_alu 0xfffe
	s_and_not1_b32 exec_lo, exec_lo, s76
	s_cbranch_execz .LBB0_354
.LBB0_339:                              ;   Parent Loop BB0_225 Depth=1
                                        ;     Parent Loop BB0_336 Depth=2
                                        ; =>    This Loop Header: Depth=3
                                        ;         Child Loop BB0_341 Depth 4
                                        ;         Child Loop BB0_345 Depth 4
                                        ;         Child Loop BB0_348 Depth 4
	v_mov_b32_e32 v87, 1
	s_and_saveexec_b32 s40, s26
	s_cbranch_execz .LBB0_343
; %bb.340:                              ;   in Loop: Header=BB0_339 Depth=3
	s_mov_b32 s42, 1
	s_mov_b32 s41, 0
	;; [unrolled: 1-line block ×3, first 2 shown]
.LBB0_341:                              ;   Parent Loop BB0_225 Depth=1
                                        ;     Parent Loop BB0_336 Depth=2
                                        ;       Parent Loop BB0_339 Depth=3
                                        ; =>      This Inner Loop Header: Depth=4
	s_wait_alu 0xfffe
	s_add_co_i32 s42, s42, 1
	s_wait_alu 0xfffe
	v_cmp_eq_u32_e32 vcc_lo, s42, v12
	s_mul_i32 s43, s43, s42
	s_wait_alu 0xfffe
	v_mov_b32_e32 v87, s43
	s_or_b32 s41, vcc_lo, s41
	s_wait_alu 0xfffe
	s_and_not1_b32 exec_lo, exec_lo, s41
	s_cbranch_execnz .LBB0_341
; %bb.342:                              ;   in Loop: Header=BB0_339 Depth=3
	s_or_b32 exec_lo, exec_lo, s41
.LBB0_343:                              ;   in Loop: Header=BB0_339 Depth=3
	s_wait_alu 0xfffe
	s_or_b32 exec_lo, exec_lo, s40
	s_cmp_lt_u32 s77, 2
	s_mov_b32 s40, 1
	s_cbranch_scc1 .LBB0_346
; %bb.344:                              ;   in Loop: Header=BB0_339 Depth=3
	s_mov_b32 s41, 1
.LBB0_345:                              ;   Parent Loop BB0_225 Depth=1
                                        ;     Parent Loop BB0_336 Depth=2
                                        ;       Parent Loop BB0_339 Depth=3
                                        ; =>      This Inner Loop Header: Depth=4
	s_wait_alu 0xfffe
	s_add_co_i32 s41, s41, 1
	s_wait_alu 0xfffe
	s_cmp_lg_u32 s77, s41
	s_mul_i32 s40, s40, s41
	s_cbranch_scc1 .LBB0_345
.LBB0_346:                              ;   in Loop: Header=BB0_339 Depth=3
	v_subrev_nc_u32_e32 v97, s77, v12
	v_mov_b32_e32 v96, 1
	s_mov_b32 s41, exec_lo
	s_delay_alu instid0(VALU_DEP_2)
	v_cmpx_lt_i32_e32 1, v97
	s_cbranch_execz .LBB0_338
; %bb.347:                              ;   in Loop: Header=BB0_339 Depth=3
	s_mov_b32 s43, 1
	s_mov_b32 s42, 0
	;; [unrolled: 1-line block ×3, first 2 shown]
.LBB0_348:                              ;   Parent Loop BB0_225 Depth=1
                                        ;     Parent Loop BB0_336 Depth=2
                                        ;       Parent Loop BB0_339 Depth=3
                                        ; =>      This Inner Loop Header: Depth=4
	s_wait_alu 0xfffe
	s_add_co_i32 s78, s44, 2
	s_add_co_i32 s44, s44, 1
	s_wait_alu 0xfffe
	s_mul_i32 s43, s43, s78
	v_cmp_eq_u32_e32 vcc_lo, s44, v86
	s_wait_alu 0xfffe
	v_mov_b32_e32 v96, s43
	s_or_b32 s42, vcc_lo, s42
	s_wait_alu 0xfffe
	s_and_not1_b32 exec_lo, exec_lo, s42
	s_cbranch_execnz .LBB0_348
; %bb.349:                              ;   in Loop: Header=BB0_339 Depth=3
	s_or_b32 exec_lo, exec_lo, s42
	s_branch .LBB0_338
.LBB0_350:                              ;   in Loop: Header=BB0_336 Depth=2
	s_wait_alu 0xfffe
	s_or_b32 exec_lo, exec_lo, s75
	v_mov_b32_e32 v84, 1
	s_and_saveexec_b32 s40, s28
	s_cbranch_execz .LBB0_355
.LBB0_351:                              ;   in Loop: Header=BB0_336 Depth=2
	s_mov_b32 s42, 1
	s_mov_b32 s41, 0
	;; [unrolled: 1-line block ×3, first 2 shown]
.LBB0_352:                              ;   Parent Loop BB0_225 Depth=1
                                        ;     Parent Loop BB0_336 Depth=2
                                        ; =>    This Inner Loop Header: Depth=3
	s_wait_alu 0xfffe
	s_add_co_i32 s42, s42, 1
	s_wait_alu 0xfffe
	v_cmp_eq_u32_e32 vcc_lo, s42, v17
	s_mul_i32 s43, s43, s42
	s_wait_alu 0xfffe
	v_mov_b32_e32 v84, s43
	s_or_b32 s41, vcc_lo, s41
	s_wait_alu 0xfffe
	s_and_not1_b32 exec_lo, exec_lo, s41
	s_cbranch_execnz .LBB0_352
; %bb.353:                              ;   in Loop: Header=BB0_336 Depth=2
	s_or_b32 exec_lo, exec_lo, s41
	s_delay_alu instid0(SALU_CYCLE_1)
	s_or_b32 exec_lo, exec_lo, s40
	s_cmp_lt_u32 s74, 2
	s_mov_b32 s40, 1
	s_cbranch_scc1 .LBB0_358
	s_branch .LBB0_356
.LBB0_354:                              ;   in Loop: Header=BB0_336 Depth=2
	s_or_b32 exec_lo, exec_lo, s76
	s_delay_alu instid0(SALU_CYCLE_1)
	s_or_b32 exec_lo, exec_lo, s75
	v_mov_b32_e32 v84, 1
	s_and_saveexec_b32 s40, s28
	s_cbranch_execnz .LBB0_351
.LBB0_355:                              ;   in Loop: Header=BB0_336 Depth=2
	s_wait_alu 0xfffe
	s_or_b32 exec_lo, exec_lo, s40
	s_cmp_lt_u32 s74, 2
	s_mov_b32 s40, 1
	s_cbranch_scc1 .LBB0_358
.LBB0_356:                              ;   in Loop: Header=BB0_336 Depth=2
	s_mov_b32 s41, 1
.LBB0_357:                              ;   Parent Loop BB0_225 Depth=1
                                        ;     Parent Loop BB0_336 Depth=2
                                        ; =>    This Inner Loop Header: Depth=3
	s_wait_alu 0xfffe
	s_add_co_i32 s41, s41, 1
	s_wait_alu 0xfffe
	s_cmp_lg_u32 s74, s41
	s_mul_i32 s40, s40, s41
	s_cbranch_scc1 .LBB0_357
.LBB0_358:                              ;   in Loop: Header=BB0_336 Depth=2
	v_subrev_nc_u32_e32 v87, s74, v17
	v_mov_b32_e32 v86, 1
	s_mov_b32 s41, exec_lo
	s_delay_alu instid0(VALU_DEP_2)
	v_cmpx_lt_i32_e32 1, v87
	s_cbranch_execz .LBB0_335
; %bb.359:                              ;   in Loop: Header=BB0_336 Depth=2
	s_mov_b32 s43, 1
	s_mov_b32 s42, 0
	;; [unrolled: 1-line block ×3, first 2 shown]
.LBB0_360:                              ;   Parent Loop BB0_225 Depth=1
                                        ;     Parent Loop BB0_336 Depth=2
                                        ; =>    This Inner Loop Header: Depth=3
	s_wait_alu 0xfffe
	s_add_co_i32 s75, s44, 2
	s_add_co_i32 s44, s44, 1
	s_wait_alu 0xfffe
	s_mul_i32 s43, s43, s75
	v_cmp_eq_u32_e32 vcc_lo, s44, v82
	s_wait_alu 0xfffe
	v_mov_b32_e32 v86, s43
	s_or_b32 s42, vcc_lo, s42
	s_wait_alu 0xfffe
	s_and_not1_b32 exec_lo, exec_lo, s42
	s_cbranch_execnz .LBB0_360
; %bb.361:                              ;   in Loop: Header=BB0_336 Depth=2
	s_or_b32 exec_lo, exec_lo, s42
	s_branch .LBB0_335
.LBB0_362:
	s_or_b32 exec_lo, exec_lo, s46
.LBB0_363:
	s_wait_alu 0xfffe
	s_or_b32 exec_lo, exec_lo, s45
	v_cmp_gt_f32_e32 vcc_lo, 0xf800000, v21
	v_mul_f32_e32 v1, 0x4f800000, v21
	v_cvt_f32_f64_e32 v4, v[10:11]
	v_cvt_f32_f64_e32 v7, v[14:15]
	s_wait_alu 0xfffd
	s_delay_alu instid0(VALU_DEP_3) | instskip(NEXT) | instid1(VALU_DEP_1)
	v_cndmask_b32_e32 v1, v21, v1, vcc_lo
	v_sqrt_f32_e32 v2, v1
	s_delay_alu instid0(TRANS32_DEP_1) | instskip(SKIP_1) | instid1(VALU_DEP_2)
	v_add_nc_u32_e32 v3, -1, v2
	v_add_nc_u32_e32 v5, 1, v2
	v_fma_f32 v6, -v3, v2, v1
	s_delay_alu instid0(VALU_DEP_2) | instskip(NEXT) | instid1(VALU_DEP_2)
	v_fma_f32 v8, -v5, v2, v1
	v_cmp_ge_f32_e64 s0, 0, v6
	s_wait_alu 0xf1ff
	s_delay_alu instid0(VALU_DEP_1) | instskip(NEXT) | instid1(VALU_DEP_3)
	v_cndmask_b32_e64 v2, v2, v3, s0
	v_cmp_lt_f32_e64 s0, 0, v8
	v_cvt_f32_f64_e32 v3, v[18:19]
	s_wait_alu 0xf1ff
	s_delay_alu instid0(VALU_DEP_2) | instskip(SKIP_1) | instid1(VALU_DEP_2)
	v_cndmask_b32_e64 v2, v2, v5, s0
	v_cvt_f32_f64_e32 v5, v[22:23]
	v_mul_f32_e32 v6, 0x37800000, v2
	s_delay_alu instid0(VALU_DEP_1) | instskip(SKIP_2) | instid1(VALU_DEP_2)
	v_cndmask_b32_e32 v2, v2, v6, vcc_lo
	v_cmp_class_f32_e64 vcc_lo, v1, 0x260
	s_wait_alu 0xfffd
	v_cndmask_b32_e32 v1, v2, v1, vcc_lo
	s_delay_alu instid0(VALU_DEP_1) | instskip(NEXT) | instid1(VALU_DEP_1)
	v_mul_f32_e32 v1, 0x3f906ebb, v1
	v_mul_f32_e32 v1, v1, v4
	s_delay_alu instid0(VALU_DEP_1) | instskip(NEXT) | instid1(VALU_DEP_1)
	v_mul_f32_e32 v1, v1, v7
	v_mul_f32_e32 v1, v1, v3
	;; [unrolled: 3-line block ×3, first 2 shown]
	s_setpc_b64 s[30:31]
.LBB0_364:
	s_wait_alu 0xfffe
	s_or_b32 exec_lo, exec_lo, s3
                                        ; implicit-def: $vgpr81
	s_and_not1_saveexec_b32 s3, s7
	s_cbranch_execnz .LBB0_175
.LBB0_365:
	s_wait_alu 0xfffe
	s_or_b32 exec_lo, exec_lo, s3
                                        ; implicit-def: $vgpr81
	s_and_not1_saveexec_b32 s3, s6
	s_cbranch_execnz .LBB0_189
.LBB0_366:
	s_wait_alu 0xfffe
	s_or_b32 exec_lo, exec_lo, s3
                                        ; implicit-def: $vgpr81
	s_and_not1_saveexec_b32 s1, s5
	s_cbranch_execnz .LBB0_203
	s_branch .LBB0_216
.Lfunc_end0:
	.size	_Z12cuda_rys_pbfPKdS0_S0_S0_, .Lfunc_end0-_Z12cuda_rys_pbfPKdS0_S0_S0_
                                        ; -- End function
	.set .L_Z12cuda_rys_pbfPKdS0_S0_S0_.num_vgpr, 152
	.set .L_Z12cuda_rys_pbfPKdS0_S0_S0_.num_agpr, 0
	.set .L_Z12cuda_rys_pbfPKdS0_S0_S0_.numbered_sgpr, 79
	.set .L_Z12cuda_rys_pbfPKdS0_S0_S0_.num_named_barrier, 0
	.set .L_Z12cuda_rys_pbfPKdS0_S0_S0_.private_seg_size, 272
	.set .L_Z12cuda_rys_pbfPKdS0_S0_S0_.uses_vcc, 1
	.set .L_Z12cuda_rys_pbfPKdS0_S0_S0_.uses_flat_scratch, 1
	.set .L_Z12cuda_rys_pbfPKdS0_S0_S0_.has_dyn_sized_stack, 0
	.set .L_Z12cuda_rys_pbfPKdS0_S0_S0_.has_recursion, 0
	.set .L_Z12cuda_rys_pbfPKdS0_S0_S0_.has_indirect_call, 0
	.section	.AMDGPU.csdata,"",@progbits
; Function info:
; codeLenInByte = 59104
; TotalNumSgprs: 81
; NumVgprs: 152
; ScratchSize: 272
; MemoryBound: 0
	.text
	.protected	_Z13cuda_mat_J_PIPKdPKiiS0_PdS0_ ; -- Begin function _Z13cuda_mat_J_PIPKdPKiiS0_PdS0_
	.globl	_Z13cuda_mat_J_PIPKdPKiiS0_PdS0_
	.p2align	8
	.type	_Z13cuda_mat_J_PIPKdPKiiS0_PdS0_,@function
_Z13cuda_mat_J_PIPKdPKiiS0_PdS0_:       ; @_Z13cuda_mat_J_PIPKdPKiiS0_PdS0_
; %bb.0:
	s_load_b32 s33, s[0:1], 0x10
	s_mov_b64 s[34:35], s[0:1]
	s_mov_b32 s32, 0
	s_wait_kmcnt 0x0
	s_cmp_ge_i32 ttmp9, s33
	s_cselect_b32 s0, -1, 0
	s_cmp_gt_i32 ttmp7, ttmp9
	s_cselect_b32 s1, -1, 0
	s_delay_alu instid0(SALU_CYCLE_1) | instskip(NEXT) | instid1(SALU_CYCLE_1)
	s_or_b32 s0, s1, s0
	s_and_b32 vcc_lo, exec_lo, s0
	s_cbranch_vccnz .LBB1_12
; %bb.1:
	v_bfe_u32 v62, v0, 10, 10
	s_mov_b32 s70, 0
	s_mov_b32 s71, exec_lo
	v_mov_b32_e32 v43, 0
	v_and_b32_e32 v63, 0x3ff, v0
	v_lshlrev_b32_e32 v72, 3, v62
	s_delay_alu instid0(VALU_DEP_3) | instskip(NEXT) | instid1(VALU_DEP_2)
	v_mov_b32_e32 v42, v43
	v_lshl_add_u32 v73, v63, 6, v72
	ds_store_b64 v73, v[42:43]
	v_cmpx_gt_i32_e64 s33, v63
	s_cbranch_execz .LBB1_10
; %bb.2:
	s_clause 0x1
	s_load_b128 s[36:39], s[34:35], 0x0
	s_load_b64 s[48:49], s[34:35], 0x18
	s_mov_b32 s0, ttmp9
	s_ashr_i32 s1, ttmp9, 31
	s_mov_b32 s2, ttmp7
	s_ashr_i32 s3, ttmp7, 31
	s_lshl_b64 s[0:1], s[0:1], 2
	s_lshl_b64 s[2:3], s[2:3], 2
	v_lshlrev_b32_e32 v0, 2, v62
	v_mov_b32_e32 v44, 0
	v_dual_mov_b32 v45, 0 :: v_dual_mov_b32 v46, v63
	s_mov_b32 s52, 0x97d889bc
	s_mov_b32 s53, 0x3c9cd2b2
	s_wait_kmcnt 0x0
	s_add_nc_u64 s[0:1], s[38:39], s[0:1]
	s_add_nc_u64 s[2:3], s[38:39], s[2:3]
	s_clause 0x1
	s_load_b32 s4, s[0:1], 0x0
	s_load_b32 s5, s[2:3], 0x0
	s_load_b64 s[50:51], s[34:35], 0x28
	s_lshl_b32 s0, ttmp9, 3
	s_lshl_b32 s2, ttmp7, 3
	s_ashr_i32 s1, s0, 31
	s_delay_alu instid0(SALU_CYCLE_1) | instskip(NEXT) | instid1(SALU_CYCLE_1)
	s_lshl_b64 s[0:1], s[0:1], 3
	s_add_nc_u64 s[54:55], s[36:37], s[0:1]
	v_add_co_u32 v56, s0, s38, v0
	s_delay_alu instid0(VALU_DEP_1) | instskip(SKIP_4) | instid1(SALU_CYCLE_1)
	v_add_co_ci_u32_e64 v57, null, s39, 0, s0
	s_wait_kmcnt 0x0
	s_max_i32 s3, s4, s5
	s_min_i32 s4, s4, s5
	s_add_co_i32 s6, s3, 1
	s_mul_i32 s6, s6, s3
	s_ashr_i32 s3, s2, 31
	s_lshr_b32 s7, s6, 31
	s_lshl_b64 s[2:3], s[2:3], 3
	s_add_co_i32 s6, s6, s7
	s_add_nc_u64 s[64:65], s[36:37], s[2:3]
	s_ashr_i32 s5, s6, 1
	s_delay_alu instid0(SALU_CYCLE_1) | instskip(NEXT) | instid1(SALU_CYCLE_1)
	s_add_co_i32 s4, s5, s4
	s_ashr_i32 s5, s4, 31
	s_delay_alu instid0(SALU_CYCLE_1)
	s_lshl_b64 s[0:1], s[4:5], 3
	s_wait_alu 0xfffe
	s_add_nc_u64 s[66:67], s[50:51], s[0:1]
	s_branch .LBB1_5
.LBB1_3:                                ;   in Loop: Header=BB1_5 Depth=1
	s_or_b32 exec_lo, exec_lo, s80
.LBB1_4:                                ;   in Loop: Header=BB1_5 Depth=1
	s_wait_alu 0xfffe
	s_or_b32 exec_lo, exec_lo, s79
	v_add_nc_u32_e32 v46, 8, v46
	s_delay_alu instid0(VALU_DEP_1)
	v_cmp_le_i32_e32 vcc_lo, s33, v46
	s_or_b32 s70, vcc_lo, s70
	s_wait_alu 0xfffe
	s_and_not1_b32 exec_lo, exec_lo, s70
	s_cbranch_execz .LBB1_10
.LBB1_5:                                ; =>This Loop Header: Depth=1
                                        ;     Child Loop BB1_8 Depth 2
	s_mov_b32 s79, exec_lo
	v_cmpx_le_u32_e64 v62, v46
	s_cbranch_execz .LBB1_4
; %bb.6:                                ;   in Loop: Header=BB1_5 Depth=1
	v_dual_mov_b32 v47, v43 :: v_dual_lshlrev_b32 v42, 3, v46
	s_load_b64 s[68:69], s[66:67], 0x0
	v_mov_b32_e32 v74, v62
	s_mov_b32 s80, 0
	s_delay_alu instid0(VALU_DEP_2) | instskip(SKIP_1) | instid1(VALU_DEP_2)
	v_lshlrev_b64_e32 v[0:1], 2, v[46:47]
	v_dual_mov_b32 v59, v57 :: v_dual_mov_b32 v58, v56
	v_add_co_u32 v0, vcc_lo, s38, v0
	s_wait_alu 0xfffd
	s_delay_alu instid0(VALU_DEP_3) | instskip(SKIP_3) | instid1(VALU_DEP_2)
	v_add_co_ci_u32_e64 v1, null, s39, v1, vcc_lo
	global_load_b32 v47, v[0:1], off
	v_lshlrev_b64_e32 v[0:1], 3, v[42:43]
	v_mov_b32_e32 v42, v72
	v_add_co_u32 v40, vcc_lo, s36, v0
	s_wait_alu 0xfffd
	s_delay_alu instid0(VALU_DEP_3)
	v_add_co_ci_u32_e64 v41, null, s37, v1, vcc_lo
	s_branch .LBB1_8
.LBB1_7:                                ;   in Loop: Header=BB1_8 Depth=2
	s_wait_alu 0xfffe
	s_or_b32 exec_lo, exec_lo, s81
	v_add_nc_u32_e32 v74, 8, v74
	v_add_co_u32 v58, s0, v58, 32
	s_wait_alu 0xf1ff
	v_add_co_ci_u32_e64 v59, null, 0, v59, s0
	s_delay_alu instid0(VALU_DEP_3)
	v_cmp_gt_u32_e32 vcc_lo, v74, v46
	v_add_nc_u32_e32 v42, 64, v42
	s_or_b32 s80, vcc_lo, s80
	s_wait_alu 0xfffe
	s_and_not1_b32 exec_lo, exec_lo, s80
	s_cbranch_execz .LBB1_3
.LBB1_8:                                ;   Parent Loop BB1_5 Depth=1
                                        ; =>  This Inner Loop Header: Depth=2
	global_load_b32 v2, v[58:59], off
	s_mov_b32 s81, exec_lo
	s_wait_loadcnt 0x0
	v_max_i32_e32 v0, v47, v2
	s_delay_alu instid0(VALU_DEP_1) | instskip(NEXT) | instid1(VALU_DEP_1)
	v_mad_co_u64_u32 v[0:1], null, v0, v0, v[0:1]
	v_lshrrev_b32_e32 v1, 31, v0
	s_delay_alu instid0(VALU_DEP_1) | instskip(SKIP_1) | instid1(VALU_DEP_2)
	v_add_nc_u32_e32 v0, v0, v1
	v_min_i32_e32 v1, v47, v2
	v_ashrrev_i32_e32 v0, 1, v0
	s_delay_alu instid0(VALU_DEP_1) | instskip(NEXT) | instid1(VALU_DEP_1)
	v_add_nc_u32_e32 v0, v0, v1
	v_ashrrev_i32_e32 v1, 31, v0
	s_delay_alu instid0(VALU_DEP_1) | instskip(NEXT) | instid1(VALU_DEP_1)
	v_lshlrev_b64_e32 v[0:1], 3, v[0:1]
	v_add_co_u32 v2, vcc_lo, s50, v0
	s_wait_alu 0xfffd
	s_delay_alu instid0(VALU_DEP_2)
	v_add_co_ci_u32_e64 v3, null, s51, v1, vcc_lo
	v_add_co_u32 v0, vcc_lo, s48, v0
	s_wait_alu 0xfffd
	v_add_co_ci_u32_e64 v1, null, s49, v1, vcc_lo
	global_load_b64 v[2:3], v[2:3], off
	global_load_b64 v[60:61], v[0:1], off
	s_wait_loadcnt 0x1
	s_wait_kmcnt 0x0
	v_mul_f64_e32 v[0:1], s[68:69], v[2:3]
	s_wait_loadcnt 0x0
	s_delay_alu instid0(VALU_DEP_1) | instskip(NEXT) | instid1(VALU_DEP_1)
	v_mul_f64_e32 v[0:1], v[0:1], v[60:61]
	v_cmpx_nlt_f64_e64 |v[0:1]|, s[52:53]
	s_cbranch_execz .LBB1_7
; %bb.9:                                ;   in Loop: Header=BB1_8 Depth=2
	v_lshlrev_b64_e32 v[0:1], 3, v[42:43]
	v_dual_mov_b32 v2, s64 :: v_dual_mov_b32 v3, s65
	v_dual_mov_b32 v4, v40 :: v_dual_mov_b32 v5, v41
	s_getpc_b64 s[0:1]
	s_wait_alu 0xfffe
	s_sext_i32_i16 s1, s1
	s_add_co_u32 s0, s0, _Z12cuda_rys_pbfPKdS0_S0_S0_@rel32@lo+12
	s_wait_alu 0xfffe
	s_add_co_ci_u32 s1, s1, _Z12cuda_rys_pbfPKdS0_S0_S0_@rel32@hi+24
	v_add_co_u32 v6, vcc_lo, s36, v0
	s_wait_alu 0xfffd
	v_add_co_ci_u32_e64 v7, null, s37, v1, vcc_lo
	v_dual_mov_b32 v0, s54 :: v_dual_mov_b32 v1, s55
	s_wait_alu 0xfffe
	s_swappc_b64 s[30:31], s[0:1]
	s_delay_alu instid0(VALU_DEP_1) | instskip(SKIP_4) | instid1(VALU_DEP_4)
	v_cvt_f64_f32_e32 v[0:1], v0
	v_cmp_eq_u32_e32 vcc_lo, v46, v74
	v_mov_b32_e32 v2, v43
	s_wait_alu 0xfffd
	v_cndmask_b32_e64 v3, 2.0, 0x3ff00000, vcc_lo
	v_mul_f64_e32 v[0:1], v[60:61], v[0:1]
	s_delay_alu instid0(VALU_DEP_1)
	v_fma_f64 v[44:45], v[2:3], v[0:1], v[44:45]
	ds_store_b64 v73, v[44:45]
	s_branch .LBB1_7
.LBB1_10:
	s_or_b32 exec_lo, exec_lo, s71
	s_load_b64 s[0:1], s[34:35], 0x20
	v_or_b32_e32 v0, v63, v62
	s_wait_storecnt_dscnt 0x0
	s_barrier_signal -1
	s_barrier_wait -1
	global_inv scope:SCOPE_SE
	s_mov_b32 s2, exec_lo
	v_cmpx_eq_u32_e32 0, v0
	s_cbranch_execz .LBB1_12
; %bb.11:
	v_mov_b32_e32 v10, 0
	s_add_co_i32 s2, ttmp9, 1
	ds_load_b128 v[0:3], v10
	ds_load_b128 v[4:7], v10 offset:16
	s_wait_alu 0xfffe
	s_mul_i32 s2, s2, ttmp9
	s_wait_alu 0xfffe
	s_lshr_b32 s3, s2, 31
	s_wait_alu 0xfffe
	s_add_co_i32 s2, s2, s3
	s_wait_alu 0xfffe
	s_ashr_i32 s2, s2, 1
	s_wait_alu 0xfffe
	s_add_co_i32 s2, s2, ttmp7
	s_wait_alu 0xfffe
	s_ashr_i32 s3, s2, 31
	s_wait_alu 0xfffe
	s_lshl_b64 s[2:3], s[2:3], 3
	s_wait_kmcnt 0x0
	s_wait_alu 0xfffe
	s_add_nc_u64 s[0:1], s[0:1], s[2:3]
	s_wait_dscnt 0x1
	v_add_f64_e32 v[0:1], 0, v[0:1]
	s_delay_alu instid0(VALU_DEP_1) | instskip(SKIP_1) | instid1(VALU_DEP_1)
	v_add_f64_e32 v[0:1], v[2:3], v[0:1]
	s_wait_dscnt 0x0
	v_add_f64_e32 v[0:1], v[4:5], v[0:1]
	s_delay_alu instid0(VALU_DEP_1) | instskip(SKIP_4) | instid1(VALU_DEP_1)
	v_add_f64_e32 v[8:9], v[6:7], v[0:1]
	ds_load_b128 v[0:3], v10 offset:32
	ds_load_b128 v[4:7], v10 offset:48
	s_wait_dscnt 0x1
	v_add_f64_e32 v[0:1], v[0:1], v[8:9]
	v_add_f64_e32 v[0:1], v[2:3], v[0:1]
	s_wait_dscnt 0x0
	s_delay_alu instid0(VALU_DEP_1) | instskip(NEXT) | instid1(VALU_DEP_1)
	v_add_f64_e32 v[0:1], v[4:5], v[0:1]
	v_add_f64_e32 v[8:9], v[6:7], v[0:1]
	ds_load_b128 v[0:3], v10 offset:64
	ds_load_b128 v[4:7], v10 offset:80
	s_wait_dscnt 0x1
	v_add_f64_e32 v[0:1], v[0:1], v[8:9]
	s_delay_alu instid0(VALU_DEP_1) | instskip(SKIP_1) | instid1(VALU_DEP_1)
	v_add_f64_e32 v[0:1], v[2:3], v[0:1]
	s_wait_dscnt 0x0
	v_add_f64_e32 v[0:1], v[4:5], v[0:1]
	s_delay_alu instid0(VALU_DEP_1) | instskip(SKIP_4) | instid1(VALU_DEP_1)
	v_add_f64_e32 v[8:9], v[6:7], v[0:1]
	ds_load_b128 v[0:3], v10 offset:96
	ds_load_b128 v[4:7], v10 offset:112
	s_wait_dscnt 0x1
	v_add_f64_e32 v[0:1], v[0:1], v[8:9]
	v_add_f64_e32 v[0:1], v[2:3], v[0:1]
	s_wait_dscnt 0x0
	s_delay_alu instid0(VALU_DEP_1) | instskip(NEXT) | instid1(VALU_DEP_1)
	v_add_f64_e32 v[0:1], v[4:5], v[0:1]
	v_add_f64_e32 v[8:9], v[6:7], v[0:1]
	ds_load_b128 v[0:3], v10 offset:128
	ds_load_b128 v[4:7], v10 offset:144
	;; [unrolled: 19-line block ×7, first 2 shown]
	s_wait_dscnt 0x1
	v_add_f64_e32 v[0:1], v[0:1], v[8:9]
	s_delay_alu instid0(VALU_DEP_1) | instskip(SKIP_1) | instid1(VALU_DEP_1)
	v_add_f64_e32 v[0:1], v[2:3], v[0:1]
	s_wait_dscnt 0x0
	v_add_f64_e32 v[0:1], v[4:5], v[0:1]
	s_delay_alu instid0(VALU_DEP_1) | instskip(SKIP_4) | instid1(VALU_DEP_1)
	v_add_f64_e32 v[8:9], v[6:7], v[0:1]
	ds_load_b128 v[0:3], v10 offset:480
	ds_load_b128 v[4:7], v10 offset:496
	s_wait_dscnt 0x1
	v_add_f64_e32 v[0:1], v[0:1], v[8:9]
	v_add_f64_e32 v[0:1], v[2:3], v[0:1]
	s_wait_dscnt 0x0
	s_delay_alu instid0(VALU_DEP_1) | instskip(NEXT) | instid1(VALU_DEP_1)
	v_add_f64_e32 v[0:1], v[4:5], v[0:1]
	v_add_f64_e32 v[0:1], v[6:7], v[0:1]
	global_store_b64 v10, v[0:1], s[0:1]
.LBB1_12:
	s_nop 0
	s_sendmsg sendmsg(MSG_DEALLOC_VGPRS)
	s_endpgm
	.section	.rodata,"a",@progbits
	.p2align	6, 0x0
	.amdhsa_kernel _Z13cuda_mat_J_PIPKdPKiiS0_PdS0_
		.amdhsa_group_segment_fixed_size 512
		.amdhsa_private_segment_fixed_size 272
		.amdhsa_kernarg_size 48
		.amdhsa_user_sgpr_count 2
		.amdhsa_user_sgpr_dispatch_ptr 0
		.amdhsa_user_sgpr_queue_ptr 0
		.amdhsa_user_sgpr_kernarg_segment_ptr 1
		.amdhsa_user_sgpr_dispatch_id 0
		.amdhsa_user_sgpr_private_segment_size 0
		.amdhsa_wavefront_size32 1
		.amdhsa_uses_dynamic_stack 0
		.amdhsa_enable_private_segment 1
		.amdhsa_system_sgpr_workgroup_id_x 1
		.amdhsa_system_sgpr_workgroup_id_y 1
		.amdhsa_system_sgpr_workgroup_id_z 0
		.amdhsa_system_sgpr_workgroup_info 0
		.amdhsa_system_vgpr_workitem_id 1
		.amdhsa_next_free_vgpr 152
		.amdhsa_next_free_sgpr 82
		.amdhsa_reserve_vcc 1
		.amdhsa_float_round_mode_32 0
		.amdhsa_float_round_mode_16_64 0
		.amdhsa_float_denorm_mode_32 3
		.amdhsa_float_denorm_mode_16_64 3
		.amdhsa_fp16_overflow 0
		.amdhsa_workgroup_processor_mode 1
		.amdhsa_memory_ordered 1
		.amdhsa_forward_progress 1
		.amdhsa_inst_pref_size 15
		.amdhsa_round_robin_scheduling 0
		.amdhsa_exception_fp_ieee_invalid_op 0
		.amdhsa_exception_fp_denorm_src 0
		.amdhsa_exception_fp_ieee_div_zero 0
		.amdhsa_exception_fp_ieee_overflow 0
		.amdhsa_exception_fp_ieee_underflow 0
		.amdhsa_exception_fp_ieee_inexact 0
		.amdhsa_exception_int_div_zero 0
	.end_amdhsa_kernel
	.text
.Lfunc_end1:
	.size	_Z13cuda_mat_J_PIPKdPKiiS0_PdS0_, .Lfunc_end1-_Z13cuda_mat_J_PIPKdPKiiS0_PdS0_
                                        ; -- End function
	.set _Z13cuda_mat_J_PIPKdPKiiS0_PdS0_.num_vgpr, max(75, .L_Z12cuda_rys_pbfPKdS0_S0_S0_.num_vgpr)
	.set _Z13cuda_mat_J_PIPKdPKiiS0_PdS0_.num_agpr, max(0, .L_Z12cuda_rys_pbfPKdS0_S0_S0_.num_agpr)
	.set _Z13cuda_mat_J_PIPKdPKiiS0_PdS0_.numbered_sgpr, max(82, .L_Z12cuda_rys_pbfPKdS0_S0_S0_.numbered_sgpr)
	.set _Z13cuda_mat_J_PIPKdPKiiS0_PdS0_.num_named_barrier, max(0, .L_Z12cuda_rys_pbfPKdS0_S0_S0_.num_named_barrier)
	.set _Z13cuda_mat_J_PIPKdPKiiS0_PdS0_.private_seg_size, 0+max(.L_Z12cuda_rys_pbfPKdS0_S0_S0_.private_seg_size)
	.set _Z13cuda_mat_J_PIPKdPKiiS0_PdS0_.uses_vcc, or(1, .L_Z12cuda_rys_pbfPKdS0_S0_S0_.uses_vcc)
	.set _Z13cuda_mat_J_PIPKdPKiiS0_PdS0_.uses_flat_scratch, or(0, .L_Z12cuda_rys_pbfPKdS0_S0_S0_.uses_flat_scratch)
	.set _Z13cuda_mat_J_PIPKdPKiiS0_PdS0_.has_dyn_sized_stack, or(0, .L_Z12cuda_rys_pbfPKdS0_S0_S0_.has_dyn_sized_stack)
	.set _Z13cuda_mat_J_PIPKdPKiiS0_PdS0_.has_recursion, or(0, .L_Z12cuda_rys_pbfPKdS0_S0_S0_.has_recursion)
	.set _Z13cuda_mat_J_PIPKdPKiiS0_PdS0_.has_indirect_call, or(0, .L_Z12cuda_rys_pbfPKdS0_S0_S0_.has_indirect_call)
	.section	.AMDGPU.csdata,"",@progbits
; Kernel info:
; codeLenInByte = 1800
; TotalNumSgprs: 84
; NumVgprs: 152
; ScratchSize: 272
; MemoryBound: 0
; FloatMode: 240
; IeeeMode: 1
; LDSByteSize: 512 bytes/workgroup (compile time only)
; SGPRBlocks: 0
; VGPRBlocks: 18
; NumSGPRsForWavesPerEU: 84
; NumVGPRsForWavesPerEU: 152
; Occupancy: 9
; WaveLimiterHint : 0
; COMPUTE_PGM_RSRC2:SCRATCH_EN: 1
; COMPUTE_PGM_RSRC2:USER_SGPR: 2
; COMPUTE_PGM_RSRC2:TRAP_HANDLER: 0
; COMPUTE_PGM_RSRC2:TGID_X_EN: 1
; COMPUTE_PGM_RSRC2:TGID_Y_EN: 1
; COMPUTE_PGM_RSRC2:TGID_Z_EN: 0
; COMPUTE_PGM_RSRC2:TIDIG_COMP_CNT: 1
	.text
	.protected	_Z13cuda_mat_K_PIPKdPKiiS0_PdS0_ ; -- Begin function _Z13cuda_mat_K_PIPKdPKiiS0_PdS0_
	.globl	_Z13cuda_mat_K_PIPKdPKiiS0_PdS0_
	.p2align	8
	.type	_Z13cuda_mat_K_PIPKdPKiiS0_PdS0_,@function
_Z13cuda_mat_K_PIPKdPKiiS0_PdS0_:       ; @_Z13cuda_mat_K_PIPKdPKiiS0_PdS0_
; %bb.0:
	s_load_b32 s66, s[0:1], 0x10
	s_mov_b64 s[34:35], s[0:1]
	s_mov_b32 s32, 0
	s_wait_kmcnt 0x0
	s_cmp_ge_i32 ttmp9, s66
	s_cselect_b32 s0, -1, 0
	s_cmp_gt_i32 ttmp7, ttmp9
	s_cselect_b32 s1, -1, 0
	s_delay_alu instid0(SALU_CYCLE_1) | instskip(NEXT) | instid1(SALU_CYCLE_1)
	s_or_b32 s0, s1, s0
	s_and_b32 vcc_lo, exec_lo, s0
	s_cbranch_vccnz .LBB2_12
; %bb.1:
	v_bfe_u32 v63, v0, 10, 10
	v_dual_mov_b32 v43, 0 :: v_dual_and_b32 v72, 0x3ff, v0
	s_mov_b32 s67, 0
	s_mov_b32 s68, exec_lo
	s_delay_alu instid0(VALU_DEP_1) | instskip(NEXT) | instid1(VALU_DEP_1)
	v_dual_mov_b32 v42, v43 :: v_dual_lshlrev_b32 v73, 3, v63
	v_lshl_add_u32 v74, v72, 6, v73
	ds_store_b64 v74, v[42:43]
	v_cmpx_gt_i32_e64 s66, v72
	s_cbranch_execz .LBB2_10
; %bb.2:
	s_clause 0x2
	s_load_b128 s[36:39], s[34:35], 0x0
	s_load_b64 s[48:49], s[34:35], 0x18
	s_load_b64 s[50:51], s[34:35], 0x28
	s_mov_b32 s0, ttmp9
	s_ashr_i32 s1, ttmp9, 31
	s_mov_b32 s2, ttmp7
	s_ashr_i32 s3, ttmp7, 31
	s_lshl_b64 s[0:1], s[0:1], 2
	s_lshl_b64 s[2:3], s[2:3], 2
	s_lshl_b32 s4, ttmp9, 3
	v_lshlrev_b32_e32 v0, 2, v63
	s_ashr_i32 s5, s4, 31
	v_mov_b32_e32 v46, 0
	v_mov_b32_e32 v47, 0
	v_cmp_gt_u32_e64 s33, s66, v63
	v_mov_b32_e32 v56, v72
	s_mov_b32 s64, 0x97d889bc
	s_mov_b32 s65, 0x3c9cd2b2
	s_wait_kmcnt 0x0
	s_add_nc_u64 s[0:1], s[38:39], s[0:1]
	s_add_nc_u64 s[2:3], s[38:39], s[2:3]
	s_clause 0x1
	s_load_b32 s69, s[0:1], 0x0
	s_load_b32 s70, s[2:3], 0x0
	s_lshl_b64 s[2:3], s[4:5], 3
	s_lshl_b32 s0, ttmp7, 3
	s_add_nc_u64 s[52:53], s[36:37], s[2:3]
	v_add_co_u32 v44, s2, s38, v0
	s_ashr_i32 s1, s0, 31
	v_add_co_ci_u32_e64 v45, null, s39, 0, s2
	s_lshl_b64 s[0:1], s[0:1], 3
	s_delay_alu instid0(SALU_CYCLE_1)
	s_add_nc_u64 s[54:55], s[36:37], s[0:1]
	s_branch .LBB2_5
.LBB2_3:                                ;   in Loop: Header=BB2_5 Depth=1
	s_or_b32 exec_lo, exec_lo, s79
.LBB2_4:                                ;   in Loop: Header=BB2_5 Depth=1
	s_wait_alu 0xfffe
	s_or_b32 exec_lo, exec_lo, s71
	v_add_nc_u32_e32 v56, 8, v56
	s_delay_alu instid0(VALU_DEP_1)
	v_cmp_le_i32_e32 vcc_lo, s66, v56
	s_or_b32 s67, vcc_lo, s67
	s_wait_alu 0xfffe
	s_and_not1_b32 exec_lo, exec_lo, s67
	s_cbranch_execz .LBB2_10
.LBB2_5:                                ; =>This Loop Header: Depth=1
                                        ;     Child Loop BB2_8 Depth 2
	s_and_saveexec_b32 s71, s33
	s_cbranch_execz .LBB2_4
; %bb.6:                                ;   in Loop: Header=BB2_5 Depth=1
	v_dual_mov_b32 v57, v43 :: v_dual_lshlrev_b32 v42, 3, v56
	v_dual_mov_b32 v60, v45 :: v_dual_mov_b32 v59, v44
	v_mov_b32_e32 v76, v63
	s_delay_alu instid0(VALU_DEP_3) | instskip(SKIP_1) | instid1(VALU_DEP_1)
	v_lshlrev_b64_e32 v[0:1], 2, v[56:57]
	s_mov_b32 s79, 0
	v_add_co_u32 v0, vcc_lo, s38, v0
	s_wait_alu 0xfffd
	s_delay_alu instid0(VALU_DEP_2) | instskip(SKIP_4) | instid1(VALU_DEP_1)
	v_add_co_ci_u32_e64 v1, null, s39, v1, vcc_lo
	global_load_b32 v75, v[0:1], off
	s_wait_loadcnt 0x0
	s_wait_kmcnt 0x0
	v_max_i32_e32 v0, s69, v75
	v_mad_co_u64_u32 v[0:1], null, v0, v0, v[0:1]
	s_delay_alu instid0(VALU_DEP_1) | instskip(NEXT) | instid1(VALU_DEP_1)
	v_lshrrev_b32_e32 v1, 31, v0
	v_add_nc_u32_e32 v0, v0, v1
	v_min_i32_e32 v1, s69, v75
	s_delay_alu instid0(VALU_DEP_2) | instskip(NEXT) | instid1(VALU_DEP_1)
	v_ashrrev_i32_e32 v0, 1, v0
	v_add_nc_u32_e32 v0, v0, v1
	s_delay_alu instid0(VALU_DEP_1) | instskip(NEXT) | instid1(VALU_DEP_1)
	v_ashrrev_i32_e32 v1, 31, v0
	v_lshlrev_b64_e32 v[0:1], 3, v[0:1]
	s_delay_alu instid0(VALU_DEP_1) | instskip(SKIP_1) | instid1(VALU_DEP_2)
	v_add_co_u32 v0, vcc_lo, s50, v0
	s_wait_alu 0xfffd
	v_add_co_ci_u32_e64 v1, null, s51, v1, vcc_lo
	global_load_b64 v[57:58], v[0:1], off
	v_lshlrev_b64_e32 v[0:1], 3, v[42:43]
	v_mov_b32_e32 v42, v73
	s_delay_alu instid0(VALU_DEP_2) | instskip(SKIP_1) | instid1(VALU_DEP_3)
	v_add_co_u32 v40, vcc_lo, s36, v0
	s_wait_alu 0xfffd
	v_add_co_ci_u32_e64 v41, null, s37, v1, vcc_lo
	s_branch .LBB2_8
.LBB2_7:                                ;   in Loop: Header=BB2_8 Depth=2
	s_wait_alu 0xfffe
	s_or_b32 exec_lo, exec_lo, s80
	v_add_nc_u32_e32 v76, 8, v76
	v_add_co_u32 v59, s0, v59, 32
	s_wait_alu 0xf1ff
	v_add_co_ci_u32_e64 v60, null, 0, v60, s0
	s_delay_alu instid0(VALU_DEP_3)
	v_cmp_le_i32_e32 vcc_lo, s66, v76
	v_add_nc_u32_e32 v42, 64, v42
	s_or_b32 s79, vcc_lo, s79
	s_wait_alu 0xfffe
	s_and_not1_b32 exec_lo, exec_lo, s79
	s_cbranch_execz .LBB2_3
.LBB2_8:                                ;   Parent Loop BB2_5 Depth=1
                                        ; =>  This Inner Loop Header: Depth=2
	global_load_b32 v4, v[59:60], off
	s_mov_b32 s80, exec_lo
	s_wait_loadcnt 0x0
	v_max_i32_e32 v0, s70, v4
	v_max_i32_e32 v2, v75, v4
	s_delay_alu instid0(VALU_DEP_2) | instskip(NEXT) | instid1(VALU_DEP_2)
	v_mad_co_u64_u32 v[0:1], null, v0, v0, v[0:1]
	v_mad_co_u64_u32 v[2:3], null, v2, v2, v[2:3]
	s_delay_alu instid0(VALU_DEP_2) | instskip(NEXT) | instid1(VALU_DEP_2)
	v_lshrrev_b32_e32 v1, 31, v0
	v_lshrrev_b32_e32 v3, 31, v2
	s_delay_alu instid0(VALU_DEP_2) | instskip(SKIP_1) | instid1(VALU_DEP_3)
	v_add_nc_u32_e32 v0, v0, v1
	v_min_i32_e32 v1, s70, v4
	v_add_nc_u32_e32 v2, v2, v3
	v_min_i32_e32 v3, v75, v4
	s_delay_alu instid0(VALU_DEP_4) | instskip(NEXT) | instid1(VALU_DEP_3)
	v_ashrrev_i32_e32 v0, 1, v0
	v_ashrrev_i32_e32 v2, 1, v2
	s_delay_alu instid0(VALU_DEP_2) | instskip(NEXT) | instid1(VALU_DEP_2)
	v_add_nc_u32_e32 v0, v0, v1
	v_add_nc_u32_e32 v2, v2, v3
	s_delay_alu instid0(VALU_DEP_2) | instskip(NEXT) | instid1(VALU_DEP_2)
	v_ashrrev_i32_e32 v1, 31, v0
	v_ashrrev_i32_e32 v3, 31, v2
	s_delay_alu instid0(VALU_DEP_2) | instskip(NEXT) | instid1(VALU_DEP_2)
	v_lshlrev_b64_e32 v[0:1], 3, v[0:1]
	v_lshlrev_b64_e32 v[2:3], 3, v[2:3]
	s_delay_alu instid0(VALU_DEP_2) | instskip(SKIP_1) | instid1(VALU_DEP_3)
	v_add_co_u32 v0, vcc_lo, s50, v0
	s_wait_alu 0xfffd
	v_add_co_ci_u32_e64 v1, null, s51, v1, vcc_lo
	s_delay_alu instid0(VALU_DEP_3)
	v_add_co_u32 v2, vcc_lo, s48, v2
	s_wait_alu 0xfffd
	v_add_co_ci_u32_e64 v3, null, s49, v3, vcc_lo
	global_load_b64 v[0:1], v[0:1], off
	global_load_b64 v[61:62], v[2:3], off
	s_wait_loadcnt 0x1
	v_mul_f64_e32 v[0:1], v[57:58], v[0:1]
	s_wait_loadcnt 0x0
	s_delay_alu instid0(VALU_DEP_1) | instskip(NEXT) | instid1(VALU_DEP_1)
	v_mul_f64_e32 v[0:1], v[0:1], v[61:62]
	v_cmpx_nlt_f64_e64 |v[0:1]|, s[64:65]
	s_cbranch_execz .LBB2_7
; %bb.9:                                ;   in Loop: Header=BB2_8 Depth=2
	v_lshlrev_b64_e32 v[0:1], 3, v[42:43]
	v_dual_mov_b32 v2, v40 :: v_dual_mov_b32 v3, v41
	v_dual_mov_b32 v4, s54 :: v_dual_mov_b32 v5, s55
	s_getpc_b64 s[0:1]
	s_wait_alu 0xfffe
	s_sext_i32_i16 s1, s1
	s_add_co_u32 s0, s0, _Z12cuda_rys_pbfPKdS0_S0_S0_@rel32@lo+12
	s_wait_alu 0xfffe
	s_add_co_ci_u32 s1, s1, _Z12cuda_rys_pbfPKdS0_S0_S0_@rel32@hi+24
	v_add_co_u32 v6, vcc_lo, s36, v0
	s_wait_alu 0xfffd
	v_add_co_ci_u32_e64 v7, null, s37, v1, vcc_lo
	v_dual_mov_b32 v0, s52 :: v_dual_mov_b32 v1, s53
	s_wait_alu 0xfffe
	s_swappc_b64 s[30:31], s[0:1]
	s_delay_alu instid0(VALU_DEP_1) | instskip(NEXT) | instid1(VALU_DEP_1)
	v_cvt_f64_f32_e32 v[0:1], v0
	v_fma_f64 v[46:47], v[61:62], v[0:1], v[46:47]
	ds_store_b64 v74, v[46:47]
	s_branch .LBB2_7
.LBB2_10:
	s_or_b32 exec_lo, exec_lo, s68
	s_load_b64 s[0:1], s[34:35], 0x20
	v_or_b32_e32 v0, v72, v63
	s_wait_storecnt_dscnt 0x0
	s_barrier_signal -1
	s_barrier_wait -1
	global_inv scope:SCOPE_SE
	s_mov_b32 s2, exec_lo
	v_cmpx_eq_u32_e32 0, v0
	s_cbranch_execz .LBB2_12
; %bb.11:
	v_mov_b32_e32 v10, 0
	s_add_co_i32 s2, ttmp9, 1
	ds_load_b128 v[0:3], v10
	ds_load_b128 v[4:7], v10 offset:16
	s_wait_alu 0xfffe
	s_mul_i32 s2, s2, ttmp9
	s_wait_alu 0xfffe
	s_lshr_b32 s3, s2, 31
	s_wait_alu 0xfffe
	s_add_co_i32 s2, s2, s3
	s_wait_alu 0xfffe
	s_ashr_i32 s2, s2, 1
	s_wait_alu 0xfffe
	s_add_co_i32 s2, s2, ttmp7
	s_wait_alu 0xfffe
	s_ashr_i32 s3, s2, 31
	s_wait_alu 0xfffe
	s_lshl_b64 s[2:3], s[2:3], 3
	s_wait_kmcnt 0x0
	s_wait_alu 0xfffe
	s_add_nc_u64 s[0:1], s[0:1], s[2:3]
	s_wait_dscnt 0x1
	v_add_f64_e32 v[0:1], 0, v[0:1]
	s_delay_alu instid0(VALU_DEP_1) | instskip(SKIP_1) | instid1(VALU_DEP_1)
	v_add_f64_e32 v[0:1], v[2:3], v[0:1]
	s_wait_dscnt 0x0
	v_add_f64_e32 v[0:1], v[4:5], v[0:1]
	s_delay_alu instid0(VALU_DEP_1) | instskip(SKIP_4) | instid1(VALU_DEP_1)
	v_add_f64_e32 v[8:9], v[6:7], v[0:1]
	ds_load_b128 v[0:3], v10 offset:32
	ds_load_b128 v[4:7], v10 offset:48
	s_wait_dscnt 0x1
	v_add_f64_e32 v[0:1], v[0:1], v[8:9]
	v_add_f64_e32 v[0:1], v[2:3], v[0:1]
	s_wait_dscnt 0x0
	s_delay_alu instid0(VALU_DEP_1) | instskip(NEXT) | instid1(VALU_DEP_1)
	v_add_f64_e32 v[0:1], v[4:5], v[0:1]
	v_add_f64_e32 v[8:9], v[6:7], v[0:1]
	ds_load_b128 v[0:3], v10 offset:64
	ds_load_b128 v[4:7], v10 offset:80
	s_wait_dscnt 0x1
	v_add_f64_e32 v[0:1], v[0:1], v[8:9]
	s_delay_alu instid0(VALU_DEP_1) | instskip(SKIP_1) | instid1(VALU_DEP_1)
	v_add_f64_e32 v[0:1], v[2:3], v[0:1]
	s_wait_dscnt 0x0
	v_add_f64_e32 v[0:1], v[4:5], v[0:1]
	s_delay_alu instid0(VALU_DEP_1) | instskip(SKIP_4) | instid1(VALU_DEP_1)
	v_add_f64_e32 v[8:9], v[6:7], v[0:1]
	ds_load_b128 v[0:3], v10 offset:96
	ds_load_b128 v[4:7], v10 offset:112
	s_wait_dscnt 0x1
	v_add_f64_e32 v[0:1], v[0:1], v[8:9]
	v_add_f64_e32 v[0:1], v[2:3], v[0:1]
	s_wait_dscnt 0x0
	s_delay_alu instid0(VALU_DEP_1) | instskip(NEXT) | instid1(VALU_DEP_1)
	v_add_f64_e32 v[0:1], v[4:5], v[0:1]
	v_add_f64_e32 v[8:9], v[6:7], v[0:1]
	ds_load_b128 v[0:3], v10 offset:128
	ds_load_b128 v[4:7], v10 offset:144
	;; [unrolled: 19-line block ×7, first 2 shown]
	s_wait_dscnt 0x1
	v_add_f64_e32 v[0:1], v[0:1], v[8:9]
	s_delay_alu instid0(VALU_DEP_1) | instskip(SKIP_1) | instid1(VALU_DEP_1)
	v_add_f64_e32 v[0:1], v[2:3], v[0:1]
	s_wait_dscnt 0x0
	v_add_f64_e32 v[0:1], v[4:5], v[0:1]
	s_delay_alu instid0(VALU_DEP_1) | instskip(SKIP_4) | instid1(VALU_DEP_1)
	v_add_f64_e32 v[8:9], v[6:7], v[0:1]
	ds_load_b128 v[0:3], v10 offset:480
	ds_load_b128 v[4:7], v10 offset:496
	s_wait_dscnt 0x1
	v_add_f64_e32 v[0:1], v[0:1], v[8:9]
	v_add_f64_e32 v[0:1], v[2:3], v[0:1]
	s_wait_dscnt 0x0
	s_delay_alu instid0(VALU_DEP_1) | instskip(NEXT) | instid1(VALU_DEP_1)
	v_add_f64_e32 v[0:1], v[4:5], v[0:1]
	v_add_f64_e32 v[0:1], v[6:7], v[0:1]
	global_store_b64 v10, v[0:1], s[0:1]
.LBB2_12:
	s_nop 0
	s_sendmsg sendmsg(MSG_DEALLOC_VGPRS)
	s_endpgm
	.section	.rodata,"a",@progbits
	.p2align	6, 0x0
	.amdhsa_kernel _Z13cuda_mat_K_PIPKdPKiiS0_PdS0_
		.amdhsa_group_segment_fixed_size 512
		.amdhsa_private_segment_fixed_size 272
		.amdhsa_kernarg_size 48
		.amdhsa_user_sgpr_count 2
		.amdhsa_user_sgpr_dispatch_ptr 0
		.amdhsa_user_sgpr_queue_ptr 0
		.amdhsa_user_sgpr_kernarg_segment_ptr 1
		.amdhsa_user_sgpr_dispatch_id 0
		.amdhsa_user_sgpr_private_segment_size 0
		.amdhsa_wavefront_size32 1
		.amdhsa_uses_dynamic_stack 0
		.amdhsa_enable_private_segment 1
		.amdhsa_system_sgpr_workgroup_id_x 1
		.amdhsa_system_sgpr_workgroup_id_y 1
		.amdhsa_system_sgpr_workgroup_id_z 0
		.amdhsa_system_sgpr_workgroup_info 0
		.amdhsa_system_vgpr_workitem_id 1
		.amdhsa_next_free_vgpr 152
		.amdhsa_next_free_sgpr 81
		.amdhsa_reserve_vcc 1
		.amdhsa_float_round_mode_32 0
		.amdhsa_float_round_mode_16_64 0
		.amdhsa_float_denorm_mode_32 3
		.amdhsa_float_denorm_mode_16_64 3
		.amdhsa_fp16_overflow 0
		.amdhsa_workgroup_processor_mode 1
		.amdhsa_memory_ordered 1
		.amdhsa_forward_progress 1
		.amdhsa_inst_pref_size 15
		.amdhsa_round_robin_scheduling 0
		.amdhsa_exception_fp_ieee_invalid_op 0
		.amdhsa_exception_fp_denorm_src 0
		.amdhsa_exception_fp_ieee_div_zero 0
		.amdhsa_exception_fp_ieee_overflow 0
		.amdhsa_exception_fp_ieee_underflow 0
		.amdhsa_exception_fp_ieee_inexact 0
		.amdhsa_exception_int_div_zero 0
	.end_amdhsa_kernel
	.text
.Lfunc_end2:
	.size	_Z13cuda_mat_K_PIPKdPKiiS0_PdS0_, .Lfunc_end2-_Z13cuda_mat_K_PIPKdPKiiS0_PdS0_
                                        ; -- End function
	.set _Z13cuda_mat_K_PIPKdPKiiS0_PdS0_.num_vgpr, max(77, .L_Z12cuda_rys_pbfPKdS0_S0_S0_.num_vgpr)
	.set _Z13cuda_mat_K_PIPKdPKiiS0_PdS0_.num_agpr, max(0, .L_Z12cuda_rys_pbfPKdS0_S0_S0_.num_agpr)
	.set _Z13cuda_mat_K_PIPKdPKiiS0_PdS0_.numbered_sgpr, max(81, .L_Z12cuda_rys_pbfPKdS0_S0_S0_.numbered_sgpr)
	.set _Z13cuda_mat_K_PIPKdPKiiS0_PdS0_.num_named_barrier, max(0, .L_Z12cuda_rys_pbfPKdS0_S0_S0_.num_named_barrier)
	.set _Z13cuda_mat_K_PIPKdPKiiS0_PdS0_.private_seg_size, 0+max(.L_Z12cuda_rys_pbfPKdS0_S0_S0_.private_seg_size)
	.set _Z13cuda_mat_K_PIPKdPKiiS0_PdS0_.uses_vcc, or(1, .L_Z12cuda_rys_pbfPKdS0_S0_S0_.uses_vcc)
	.set _Z13cuda_mat_K_PIPKdPKiiS0_PdS0_.uses_flat_scratch, or(0, .L_Z12cuda_rys_pbfPKdS0_S0_S0_.uses_flat_scratch)
	.set _Z13cuda_mat_K_PIPKdPKiiS0_PdS0_.has_dyn_sized_stack, or(0, .L_Z12cuda_rys_pbfPKdS0_S0_S0_.has_dyn_sized_stack)
	.set _Z13cuda_mat_K_PIPKdPKiiS0_PdS0_.has_recursion, or(0, .L_Z12cuda_rys_pbfPKdS0_S0_S0_.has_recursion)
	.set _Z13cuda_mat_K_PIPKdPKiiS0_PdS0_.has_indirect_call, or(0, .L_Z12cuda_rys_pbfPKdS0_S0_S0_.has_indirect_call)
	.section	.AMDGPU.csdata,"",@progbits
; Kernel info:
; codeLenInByte = 1844
; TotalNumSgprs: 83
; NumVgprs: 152
; ScratchSize: 272
; MemoryBound: 0
; FloatMode: 240
; IeeeMode: 1
; LDSByteSize: 512 bytes/workgroup (compile time only)
; SGPRBlocks: 0
; VGPRBlocks: 18
; NumSGPRsForWavesPerEU: 83
; NumVGPRsForWavesPerEU: 152
; Occupancy: 9
; WaveLimiterHint : 0
; COMPUTE_PGM_RSRC2:SCRATCH_EN: 1
; COMPUTE_PGM_RSRC2:USER_SGPR: 2
; COMPUTE_PGM_RSRC2:TRAP_HANDLER: 0
; COMPUTE_PGM_RSRC2:TGID_X_EN: 1
; COMPUTE_PGM_RSRC2:TGID_Y_EN: 1
; COMPUTE_PGM_RSRC2:TGID_Z_EN: 0
; COMPUTE_PGM_RSRC2:TIDIG_COMP_CNT: 1
	.text
	.p2alignl 7, 3214868480
	.fill 96, 4, 3214868480
	.section	.AMDGPU.gpr_maximums,"",@progbits
	.set amdgpu.max_num_vgpr, 152
	.set amdgpu.max_num_agpr, 0
	.set amdgpu.max_num_sgpr, 79
	.text
	.type	__hip_cuid_7fd3103f7ca1fe53,@object ; @__hip_cuid_7fd3103f7ca1fe53
	.section	.bss,"aw",@nobits
	.globl	__hip_cuid_7fd3103f7ca1fe53
__hip_cuid_7fd3103f7ca1fe53:
	.byte	0                               ; 0x0
	.size	__hip_cuid_7fd3103f7ca1fe53, 1

	.ident	"AMD clang version 22.0.0git (https://github.com/RadeonOpenCompute/llvm-project roc-7.2.4 26084 f58b06dce1f9c15707c5f808fd002e18c2accf7e)"
	.section	".note.GNU-stack","",@progbits
	.addrsig
	.addrsig_sym __hip_cuid_7fd3103f7ca1fe53
	.amdgpu_metadata
---
amdhsa.kernels:
  - .args:
      - .actual_access:  read_only
        .address_space:  global
        .offset:         0
        .size:           8
        .value_kind:     global_buffer
      - .actual_access:  read_only
        .address_space:  global
        .offset:         8
        .size:           8
        .value_kind:     global_buffer
      - .offset:         16
        .size:           4
        .value_kind:     by_value
      - .actual_access:  read_only
        .address_space:  global
        .offset:         24
        .size:           8
        .value_kind:     global_buffer
      - .actual_access:  write_only
        .address_space:  global
        .offset:         32
        .size:           8
        .value_kind:     global_buffer
      - .actual_access:  read_only
        .address_space:  global
        .offset:         40
        .size:           8
        .value_kind:     global_buffer
    .group_segment_fixed_size: 512
    .kernarg_segment_align: 8
    .kernarg_segment_size: 48
    .language:       OpenCL C
    .language_version:
      - 2
      - 0
    .max_flat_workgroup_size: 1024
    .name:           _Z13cuda_mat_J_PIPKdPKiiS0_PdS0_
    .private_segment_fixed_size: 272
    .sgpr_count:     84
    .sgpr_spill_count: 0
    .symbol:         _Z13cuda_mat_J_PIPKdPKiiS0_PdS0_.kd
    .uniform_work_group_size: 1
    .uses_dynamic_stack: false
    .vgpr_count:     152
    .vgpr_spill_count: 0
    .wavefront_size: 32
    .workgroup_processor_mode: 1
  - .args:
      - .actual_access:  read_only
        .address_space:  global
        .offset:         0
        .size:           8
        .value_kind:     global_buffer
      - .actual_access:  read_only
        .address_space:  global
        .offset:         8
        .size:           8
        .value_kind:     global_buffer
      - .offset:         16
        .size:           4
        .value_kind:     by_value
      - .actual_access:  read_only
        .address_space:  global
        .offset:         24
        .size:           8
        .value_kind:     global_buffer
      - .actual_access:  write_only
        .address_space:  global
        .offset:         32
        .size:           8
        .value_kind:     global_buffer
      - .actual_access:  read_only
        .address_space:  global
        .offset:         40
        .size:           8
        .value_kind:     global_buffer
    .group_segment_fixed_size: 512
    .kernarg_segment_align: 8
    .kernarg_segment_size: 48
    .language:       OpenCL C
    .language_version:
      - 2
      - 0
    .max_flat_workgroup_size: 1024
    .name:           _Z13cuda_mat_K_PIPKdPKiiS0_PdS0_
    .private_segment_fixed_size: 272
    .sgpr_count:     83
    .sgpr_spill_count: 0
    .symbol:         _Z13cuda_mat_K_PIPKdPKiiS0_PdS0_.kd
    .uniform_work_group_size: 1
    .uses_dynamic_stack: false
    .vgpr_count:     152
    .vgpr_spill_count: 0
    .wavefront_size: 32
    .workgroup_processor_mode: 1
amdhsa.target:   amdgcn-amd-amdhsa--gfx1201
amdhsa.version:
  - 1
  - 2
...

	.end_amdgpu_metadata
